;; amdgpu-corpus repo=zjin-lcf/HeCBench kind=compiled arch=gfx906 opt=O3
	.amdgcn_target "amdgcn-amd-amdhsa--gfx906"
	.amdhsa_code_object_version 6
	.text
	.protected	_Z16StreamCompactioniiifPiPKiS_ ; -- Begin function _Z16StreamCompactioniiifPiPKiS_
	.globl	_Z16StreamCompactioniiifPiPKiS_
	.p2align	8
	.type	_Z16StreamCompactioniiifPiPKiS_,@function
_Z16StreamCompactioniiifPiPKiS_:        ; @_Z16StreamCompactioniiifPiPKiS_
; %bb.0:
	s_load_dwordx4 s[8:11], s[4:5], 0x0
	s_waitcnt lgkmcnt(0)
	v_cvt_f32_i32_e32 v1, s10
	v_mul_f32_e32 v1, s11, v1
	v_cvt_i32_f32_e32 v3, v1
	v_readfirstlane_b32 s0, v3
	s_add_i32 s6, s0, s6
	s_cmp_ge_i32 s6, s10
	s_cbranch_scc1 .LBB0_563
; %bb.1:
	s_load_dword s2, s[4:5], 0x34
	s_load_dword s11, s[4:5], 0x28
	s_load_dwordx4 s[12:15], s[4:5], 0x10
	s_load_dwordx2 s[16:17], s[4:5], 0x20
	v_cmp_eq_u32_e64 s[0:1], 0, v0
	s_waitcnt lgkmcnt(0)
	s_and_b32 s26, s2, 0xffff
	s_lshl_b32 s3, s26, 2
	s_add_i32 s27, s3, 0
	s_lshl_b32 s28, s26, 5
	s_cmp_gt_u32 s26, 1
	s_cselect_b64 s[18:19], -1, 0
	s_bfe_u32 s29, s2, 0xf0001
	s_add_i32 s2, s26, -1
	v_lshl_add_u32 v4, v0, 2, 0
	v_cmp_eq_u32_e64 s[2:3], s2, v0
	v_lshl_or_b32 v5, v0, 1, 1
	v_add_u32_e32 v6, 1, v0
	v_mov_b32_e32 v7, 0
	s_branch .LBB0_3
.LBB0_2:                                ;   in Loop: Header=BB0_3 Depth=1
	s_or_b64 exec, exec, s[4:5]
	s_add_i32 s6, s6, s11
	s_cmp_ge_i32 s6, s10
	s_cbranch_scc1 .LBB0_563
.LBB0_3:                                ; =>This Loop Header: Depth=1
                                        ;     Child Loop BB0_73 Depth 2
                                        ;     Child Loop BB0_76 Depth 2
	;; [unrolled: 1-line block ×67, first 2 shown]
	s_and_saveexec_b64 s[4:5], s[0:1]
; %bb.4:                                ;   in Loop: Header=BB0_3 Depth=1
	v_mov_b32_e32 v1, s27
	ds_write_b32 v1, v7
; %bb.5:                                ;   in Loop: Header=BB0_3 Depth=1
	s_or_b64 exec, exec, s[4:5]
	v_sub_u32_e32 v1, s6, v3
	v_mul_lo_u32 v1, s28, v1
	v_mov_b32_e32 v39, 0
	v_mov_b32_e32 v38, s9
	s_waitcnt lgkmcnt(0)
	v_add_u32_e32 v1, v1, v0
	v_cmp_gt_i32_e32 vcc, s8, v1
	s_waitcnt vmcnt(0)
	s_barrier
	s_and_saveexec_b64 s[4:5], vcc
	s_cbranch_execz .LBB0_7
; %bb.6:                                ;   in Loop: Header=BB0_3 Depth=1
	v_ashrrev_i32_e32 v2, 31, v1
	v_lshlrev_b64 v[8:9], 2, v[1:2]
	v_mov_b32_e32 v2, s15
	v_add_co_u32_e32 v8, vcc, s14, v8
	v_addc_co_u32_e32 v9, vcc, v2, v9, vcc
	global_load_dword v38, v[8:9], off
	s_waitcnt vmcnt(0)
	v_cmp_ne_u32_e32 vcc, s9, v38
	v_cndmask_b32_e64 v39, 0, 1, vcc
.LBB0_7:                                ;   in Loop: Header=BB0_3 Depth=1
	s_or_b64 exec, exec, s[4:5]
	v_add_u32_e32 v1, s26, v1
	v_cmp_gt_i32_e32 vcc, s8, v1
	v_mov_b32_e32 v37, s9
	s_and_saveexec_b64 s[4:5], vcc
	s_cbranch_execz .LBB0_9
; %bb.8:                                ;   in Loop: Header=BB0_3 Depth=1
	v_ashrrev_i32_e32 v2, 31, v1
	v_lshlrev_b64 v[8:9], 2, v[1:2]
	v_mov_b32_e32 v2, s15
	v_add_co_u32_e32 v8, vcc, s14, v8
	v_addc_co_u32_e32 v9, vcc, v2, v9, vcc
	global_load_dword v37, v[8:9], off
	s_waitcnt vmcnt(0)
	v_cmp_ne_u32_e32 vcc, s9, v37
	v_addc_co_u32_e32 v39, vcc, 0, v39, vcc
.LBB0_9:                                ;   in Loop: Header=BB0_3 Depth=1
	s_or_b64 exec, exec, s[4:5]
	v_add_u32_e32 v1, s26, v1
	v_cmp_gt_i32_e32 vcc, s8, v1
	v_mov_b32_e32 v36, s9
	s_and_saveexec_b64 s[4:5], vcc
	s_cbranch_execz .LBB0_11
; %bb.10:                               ;   in Loop: Header=BB0_3 Depth=1
	v_ashrrev_i32_e32 v2, 31, v1
	v_lshlrev_b64 v[8:9], 2, v[1:2]
	v_mov_b32_e32 v2, s15
	v_add_co_u32_e32 v8, vcc, s14, v8
	v_addc_co_u32_e32 v9, vcc, v2, v9, vcc
	global_load_dword v36, v[8:9], off
	s_waitcnt vmcnt(0)
	v_cmp_ne_u32_e32 vcc, s9, v36
	v_addc_co_u32_e32 v39, vcc, 0, v39, vcc
.LBB0_11:                               ;   in Loop: Header=BB0_3 Depth=1
	s_or_b64 exec, exec, s[4:5]
	v_add_u32_e32 v1, s26, v1
	v_cmp_gt_i32_e32 vcc, s8, v1
	v_mov_b32_e32 v35, s9
	s_and_saveexec_b64 s[4:5], vcc
	s_cbranch_execz .LBB0_13
; %bb.12:                               ;   in Loop: Header=BB0_3 Depth=1
	v_ashrrev_i32_e32 v2, 31, v1
	v_lshlrev_b64 v[8:9], 2, v[1:2]
	v_mov_b32_e32 v2, s15
	v_add_co_u32_e32 v8, vcc, s14, v8
	v_addc_co_u32_e32 v9, vcc, v2, v9, vcc
	global_load_dword v35, v[8:9], off
	s_waitcnt vmcnt(0)
	v_cmp_ne_u32_e32 vcc, s9, v35
	v_addc_co_u32_e32 v39, vcc, 0, v39, vcc
.LBB0_13:                               ;   in Loop: Header=BB0_3 Depth=1
	;; [unrolled: 17-line block ×30, first 2 shown]
	s_or_b64 exec, exec, s[4:5]
	v_cndmask_b32_e64 v1, 0, 1, s[18:19]
	v_cmp_ne_u32_e64 s[4:5], 1, v1
	s_andn2_b64 vcc, exec, s[18:19]
	s_mov_b32 s7, s29
	ds_write_b32 v4, v39
	s_waitcnt lgkmcnt(0)
	s_barrier
	s_cbranch_vccz .LBB0_73
.LBB0_70:                               ;   in Loop: Header=BB0_3 Depth=1
	s_and_saveexec_b64 s[20:21], s[0:1]
	s_cbranch_execz .LBB0_83
; %bb.71:                               ;   in Loop: Header=BB0_3 Depth=1
	ds_read_b32 v1, v7
	s_ashr_i32 s7, s6, 31
	s_lshl_b64 s[22:23], s[6:7], 2
	s_add_u32 s22, s16, s22
	s_addc_u32 s23, s17, s23
	s_branch .LBB0_76
.LBB0_72:                               ;   in Loop: Header=BB0_73 Depth=2
	s_or_b64 exec, exec, s[20:21]
	s_lshr_b32 s20, s7, 1
	s_cmp_lt_u32 s7, 2
	s_mov_b32 s7, s20
	s_waitcnt lgkmcnt(0)
	s_barrier
	s_cbranch_scc1 .LBB0_70
.LBB0_73:                               ;   Parent Loop BB0_3 Depth=1
                                        ; =>  This Inner Loop Header: Depth=2
	v_cmp_gt_u32_e32 vcc, s7, v0
	s_and_saveexec_b64 s[20:21], vcc
	s_cbranch_execz .LBB0_72
; %bb.74:                               ;   in Loop: Header=BB0_73 Depth=2
	v_lshl_add_u32 v1, s7, 2, v4
	ds_read_b32 v1, v1
	ds_read_b32 v39, v4
	s_waitcnt lgkmcnt(0)
	v_add_u32_e32 v1, v39, v1
	ds_write_b32 v4, v1
	s_branch .LBB0_72
.LBB0_75:                               ;   in Loop: Header=BB0_76 Depth=2
	s_or_b64 exec, exec, s[24:25]
	s_waitcnt vmcnt(0)
	v_readfirstlane_b32 s7, v39
	s_cmp_eq_u32 s7, 0
	s_cbranch_scc0 .LBB0_78
.LBB0_76:                               ;   Parent Loop BB0_3 Depth=1
                                        ; =>  This Inner Loop Header: Depth=2
	v_mbcnt_lo_u32_b32 v39, exec_lo, 0
	v_mbcnt_hi_u32_b32 v39, exec_hi, v39
	v_cmp_eq_u32_e32 vcc, 0, v39
                                        ; implicit-def: $vgpr39
	s_and_saveexec_b64 s[24:25], vcc
	s_cbranch_execz .LBB0_75
; %bb.77:                               ;   in Loop: Header=BB0_76 Depth=2
	global_load_dword v39, v7, s[22:23] glc
	s_branch .LBB0_75
.LBB0_78:                               ;   in Loop: Header=BB0_3 Depth=1
	s_mov_b64 s[24:25], exec
	s_waitcnt lgkmcnt(0)
	v_add_u32_e32 v1, s7, v1
	s_mov_b32 s30, 0
.LBB0_79:                               ;   Parent Loop BB0_3 Depth=1
                                        ; =>  This Inner Loop Header: Depth=2
	s_ff1_i32_b64 s31, s[24:25]
	v_readlane_b32 s33, v1, s31
	s_lshl_b64 s[34:35], 1, s31
	s_add_i32 s30, s30, s33
	s_andn2_b64 s[24:25], s[24:25], s[34:35]
	s_cmp_lg_u64 s[24:25], 0
	s_cbranch_scc1 .LBB0_79
; %bb.80:                               ;   in Loop: Header=BB0_3 Depth=1
	v_mbcnt_lo_u32_b32 v1, exec_lo, 0
	v_mbcnt_hi_u32_b32 v1, exec_hi, v1
	v_cmp_eq_u32_e32 vcc, 0, v1
	s_and_saveexec_b64 s[24:25], vcc
	s_xor_b64 s[24:25], exec, s[24:25]
	s_cbranch_execz .LBB0_82
; %bb.81:                               ;   in Loop: Header=BB0_3 Depth=1
	v_mov_b32_e32 v1, s30
	global_atomic_add v7, v1, s[22:23] offset:4
.LBB0_82:                               ;   in Loop: Header=BB0_3 Depth=1
	s_or_b64 exec, exec, s[24:25]
	s_add_i32 s7, s7, -1
	v_mov_b32_e32 v1, s27
	v_mov_b32_e32 v39, s7
	ds_write_b32 v1, v39
.LBB0_83:                               ;   in Loop: Header=BB0_3 Depth=1
	s_or_b64 exec, exec, s[20:21]
	v_cmp_ne_u32_e32 vcc, s9, v38
	v_cndmask_b32_e64 v1, 0, 1, vcc
	s_and_b64 vcc, exec, s[4:5]
	s_mov_b32 s7, 1
	s_waitcnt vmcnt(0) lgkmcnt(0)
	s_barrier
	ds_write_b32 v4, v1
	s_cbranch_vccnz .LBB0_89
; %bb.84:                               ;   in Loop: Header=BB0_3 Depth=1
	s_mov_b32 s22, s26
.LBB0_85:                               ;   Parent Loop BB0_3 Depth=1
                                        ; =>  This Inner Loop Header: Depth=2
	s_lshr_b32 s23, s22, 1
	v_cmp_gt_u32_e32 vcc, s23, v0
	s_waitcnt lgkmcnt(0)
	s_barrier
	s_and_saveexec_b64 s[20:21], vcc
	s_cbranch_execz .LBB0_87
; %bb.86:                               ;   in Loop: Header=BB0_85 Depth=2
	v_mul_lo_u32 v39, s7, v5
	v_lshlrev_b32_e32 v39, 2, v39
	v_add3_u32 v39, 0, v39, -4
	v_lshl_add_u32 v40, s7, 2, v39
	ds_read_b32 v39, v39
	ds_read_b32 v41, v40
	s_waitcnt lgkmcnt(0)
	v_add_u32_e32 v39, v41, v39
	ds_write_b32 v40, v39
.LBB0_87:                               ;   in Loop: Header=BB0_85 Depth=2
	s_or_b64 exec, exec, s[20:21]
	s_lshl_b32 s7, s7, 1
	s_cmp_lt_u32 s22, 4
	s_cbranch_scc1 .LBB0_89
; %bb.88:                               ;   in Loop: Header=BB0_85 Depth=2
	s_mov_b32 s22, s23
	s_branch .LBB0_85
.LBB0_89:                               ;   in Loop: Header=BB0_3 Depth=1
	s_cmp_lt_i32 s7, s26
	s_cselect_b64 s[20:21], -1, 0
	v_cndmask_b32_e64 v39, 0, 1, s[20:21]
	v_readfirstlane_b32 s20, v39
	s_lshl_b32 s23, s7, s20
	s_ashr_i32 s7, s23, 1
	s_cmp_lt_i32 s7, 1
	s_cbranch_scc1 .LBB0_94
; %bb.90:                               ;   in Loop: Header=BB0_3 Depth=1
	s_mov_b32 s22, 0
	s_branch .LBB0_92
.LBB0_91:                               ;   in Loop: Header=BB0_92 Depth=2
	s_or_b64 exec, exec, s[20:21]
	s_lshl_b32 s20, s22, 1
	s_or_b32 s22, s20, 2
	s_cmp_ge_i32 s22, s7
	s_mov_b32 s23, s24
	s_cbranch_scc1 .LBB0_94
.LBB0_92:                               ;   Parent Loop BB0_3 Depth=1
                                        ; =>  This Inner Loop Header: Depth=2
	s_ashr_i32 s24, s23, 1
	v_cmp_ge_u32_e32 vcc, s22, v0
	s_waitcnt lgkmcnt(0)
	s_barrier
	s_and_saveexec_b64 s[20:21], vcc
	s_cbranch_execz .LBB0_91
; %bb.93:                               ;   in Loop: Header=BB0_92 Depth=2
	v_mul_lo_u32 v39, s24, v6
	s_and_b32 s23, s23, -4
	v_lshlrev_b32_e32 v39, 2, v39
	v_add3_u32 v39, 0, v39, -4
	v_add_u32_e32 v40, s23, v39
	ds_read_b32 v39, v39
	ds_read_b32 v41, v40
	s_waitcnt lgkmcnt(0)
	v_add_u32_e32 v39, v41, v39
	ds_write_b32 v40, v39
	s_branch .LBB0_91
.LBB0_94:                               ;   in Loop: Header=BB0_3 Depth=1
	v_mov_b32_e32 v40, s27
	s_waitcnt lgkmcnt(0)
	s_barrier
	ds_read_b32 v39, v4
	ds_read_b32 v40, v40
	s_waitcnt lgkmcnt(0)
	s_barrier
	s_and_saveexec_b64 s[20:21], s[2:3]
	s_cbranch_execz .LBB0_96
; %bb.95:                               ;   in Loop: Header=BB0_3 Depth=1
	v_mov_b32_e32 v41, s27
	ds_read_b32 v42, v4
	ds_read_b32 v43, v41
	s_waitcnt lgkmcnt(0)
	v_add_u32_e32 v42, v43, v42
	ds_write_b32 v41, v42
.LBB0_96:                               ;   in Loop: Header=BB0_3 Depth=1
	s_or_b64 exec, exec, s[20:21]
	v_cmp_ne_u32_e32 vcc, s9, v38
	s_and_saveexec_b64 s[20:21], vcc
	s_cbranch_execz .LBB0_98
; %bb.97:                               ;   in Loop: Header=BB0_3 Depth=1
	v_sub_u32_e32 v1, v39, v1
	v_add_u32_e32 v39, v1, v40
	v_ashrrev_i32_e32 v40, 31, v39
	v_lshlrev_b64 v[39:40], 2, v[39:40]
	v_mov_b32_e32 v1, s13
	v_add_co_u32_e32 v39, vcc, s12, v39
	v_addc_co_u32_e32 v40, vcc, v1, v40, vcc
	global_store_dword v[39:40], v38, off
.LBB0_98:                               ;   in Loop: Header=BB0_3 Depth=1
	s_or_b64 exec, exec, s[20:21]
	v_cmp_ne_u32_e32 vcc, s9, v37
	v_cndmask_b32_e64 v1, 0, 1, vcc
	s_and_b64 vcc, exec, s[4:5]
	s_mov_b32 s7, 1
	ds_write_b32 v4, v1
	s_cbranch_vccnz .LBB0_104
; %bb.99:                               ;   in Loop: Header=BB0_3 Depth=1
	s_mov_b32 s22, s26
.LBB0_100:                              ;   Parent Loop BB0_3 Depth=1
                                        ; =>  This Inner Loop Header: Depth=2
	s_lshr_b32 s23, s22, 1
	v_cmp_gt_u32_e32 vcc, s23, v0
	s_waitcnt vmcnt(0) lgkmcnt(0)
	s_barrier
	s_and_saveexec_b64 s[20:21], vcc
	s_cbranch_execz .LBB0_102
; %bb.101:                              ;   in Loop: Header=BB0_100 Depth=2
	v_mul_lo_u32 v38, s7, v5
	v_lshlrev_b32_e32 v38, 2, v38
	v_add3_u32 v38, 0, v38, -4
	v_lshl_add_u32 v39, s7, 2, v38
	ds_read_b32 v38, v38
	ds_read_b32 v40, v39
	s_waitcnt lgkmcnt(0)
	v_add_u32_e32 v38, v40, v38
	ds_write_b32 v39, v38
.LBB0_102:                              ;   in Loop: Header=BB0_100 Depth=2
	s_or_b64 exec, exec, s[20:21]
	s_lshl_b32 s7, s7, 1
	s_cmp_gt_u32 s22, 3
	s_cbranch_scc0 .LBB0_104
; %bb.103:                              ;   in Loop: Header=BB0_100 Depth=2
	s_mov_b32 s22, s23
	s_branch .LBB0_100
.LBB0_104:                              ;   in Loop: Header=BB0_3 Depth=1
	s_cmp_lt_i32 s7, s26
	s_cselect_b64 s[20:21], -1, 0
	v_cndmask_b32_e64 v38, 0, 1, s[20:21]
	v_readfirstlane_b32 s20, v38
	s_lshl_b32 s23, s7, s20
	s_ashr_i32 s7, s23, 1
	s_cmp_lt_i32 s7, 1
	s_cbranch_scc1 .LBB0_109
; %bb.105:                              ;   in Loop: Header=BB0_3 Depth=1
	s_mov_b32 s22, 0
	s_branch .LBB0_107
.LBB0_106:                              ;   in Loop: Header=BB0_107 Depth=2
	s_or_b64 exec, exec, s[20:21]
	s_lshl_b32 s20, s22, 1
	s_or_b32 s22, s20, 2
	s_cmp_lt_i32 s22, s7
	s_mov_b32 s23, s24
	s_cbranch_scc0 .LBB0_109
.LBB0_107:                              ;   Parent Loop BB0_3 Depth=1
                                        ; =>  This Inner Loop Header: Depth=2
	s_ashr_i32 s24, s23, 1
	v_cmp_ge_u32_e32 vcc, s22, v0
	s_waitcnt vmcnt(0) lgkmcnt(0)
	s_barrier
	s_and_saveexec_b64 s[20:21], vcc
	s_cbranch_execz .LBB0_106
; %bb.108:                              ;   in Loop: Header=BB0_107 Depth=2
	v_mul_lo_u32 v38, s24, v6
	s_and_b32 s23, s23, -4
	v_lshlrev_b32_e32 v38, 2, v38
	v_add3_u32 v38, 0, v38, -4
	v_add_u32_e32 v39, s23, v38
	ds_read_b32 v38, v38
	ds_read_b32 v40, v39
	s_waitcnt lgkmcnt(0)
	v_add_u32_e32 v38, v40, v38
	ds_write_b32 v39, v38
	s_branch .LBB0_106
.LBB0_109:                              ;   in Loop: Header=BB0_3 Depth=1
	v_mov_b32_e32 v39, s27
	s_waitcnt vmcnt(0) lgkmcnt(0)
	s_barrier
	ds_read_b32 v38, v4
	ds_read_b32 v39, v39
	s_waitcnt lgkmcnt(0)
	s_barrier
	s_and_saveexec_b64 s[20:21], s[2:3]
	s_cbranch_execz .LBB0_111
; %bb.110:                              ;   in Loop: Header=BB0_3 Depth=1
	v_mov_b32_e32 v40, s27
	ds_read_b32 v41, v4
	ds_read_b32 v42, v40
	s_waitcnt lgkmcnt(0)
	v_add_u32_e32 v41, v42, v41
	ds_write_b32 v40, v41
.LBB0_111:                              ;   in Loop: Header=BB0_3 Depth=1
	s_or_b64 exec, exec, s[20:21]
	v_cmp_ne_u32_e32 vcc, s9, v37
	s_and_saveexec_b64 s[20:21], vcc
	s_cbranch_execz .LBB0_113
; %bb.112:                              ;   in Loop: Header=BB0_3 Depth=1
	v_sub_u32_e32 v1, v38, v1
	v_add_u32_e32 v38, v1, v39
	v_ashrrev_i32_e32 v39, 31, v38
	v_lshlrev_b64 v[38:39], 2, v[38:39]
	v_mov_b32_e32 v1, s13
	v_add_co_u32_e32 v38, vcc, s12, v38
	v_addc_co_u32_e32 v39, vcc, v1, v39, vcc
	global_store_dword v[38:39], v37, off
.LBB0_113:                              ;   in Loop: Header=BB0_3 Depth=1
	s_or_b64 exec, exec, s[20:21]
	v_cmp_ne_u32_e32 vcc, s9, v36
	v_cndmask_b32_e64 v1, 0, 1, vcc
	s_and_b64 vcc, exec, s[4:5]
	s_mov_b32 s7, 1
	ds_write_b32 v4, v1
	s_cbranch_vccnz .LBB0_119
; %bb.114:                              ;   in Loop: Header=BB0_3 Depth=1
	s_mov_b32 s22, s26
.LBB0_115:                              ;   Parent Loop BB0_3 Depth=1
                                        ; =>  This Inner Loop Header: Depth=2
	s_lshr_b32 s23, s22, 1
	v_cmp_gt_u32_e32 vcc, s23, v0
	s_waitcnt vmcnt(0) lgkmcnt(0)
	s_barrier
	s_and_saveexec_b64 s[20:21], vcc
	s_cbranch_execz .LBB0_117
; %bb.116:                              ;   in Loop: Header=BB0_115 Depth=2
	v_mul_lo_u32 v37, s7, v5
	v_lshlrev_b32_e32 v37, 2, v37
	v_add3_u32 v37, 0, v37, -4
	v_lshl_add_u32 v38, s7, 2, v37
	ds_read_b32 v37, v37
	ds_read_b32 v39, v38
	s_waitcnt lgkmcnt(0)
	v_add_u32_e32 v37, v39, v37
	ds_write_b32 v38, v37
.LBB0_117:                              ;   in Loop: Header=BB0_115 Depth=2
	s_or_b64 exec, exec, s[20:21]
	s_lshl_b32 s7, s7, 1
	s_cmp_gt_u32 s22, 3
	s_cbranch_scc0 .LBB0_119
; %bb.118:                              ;   in Loop: Header=BB0_115 Depth=2
	s_mov_b32 s22, s23
	s_branch .LBB0_115
.LBB0_119:                              ;   in Loop: Header=BB0_3 Depth=1
	s_cmp_lt_i32 s7, s26
	s_cselect_b64 s[20:21], -1, 0
	v_cndmask_b32_e64 v37, 0, 1, s[20:21]
	v_readfirstlane_b32 s20, v37
	s_lshl_b32 s23, s7, s20
	s_ashr_i32 s7, s23, 1
	s_cmp_lt_i32 s7, 1
	s_cbranch_scc1 .LBB0_124
; %bb.120:                              ;   in Loop: Header=BB0_3 Depth=1
	s_mov_b32 s22, 0
	s_branch .LBB0_122
.LBB0_121:                              ;   in Loop: Header=BB0_122 Depth=2
	s_or_b64 exec, exec, s[20:21]
	s_lshl_b32 s20, s22, 1
	s_or_b32 s22, s20, 2
	s_cmp_lt_i32 s22, s7
	s_mov_b32 s23, s24
	s_cbranch_scc0 .LBB0_124
.LBB0_122:                              ;   Parent Loop BB0_3 Depth=1
                                        ; =>  This Inner Loop Header: Depth=2
	s_ashr_i32 s24, s23, 1
	v_cmp_ge_u32_e32 vcc, s22, v0
	s_waitcnt vmcnt(0) lgkmcnt(0)
	s_barrier
	s_and_saveexec_b64 s[20:21], vcc
	s_cbranch_execz .LBB0_121
; %bb.123:                              ;   in Loop: Header=BB0_122 Depth=2
	v_mul_lo_u32 v37, s24, v6
	s_and_b32 s23, s23, -4
	v_lshlrev_b32_e32 v37, 2, v37
	v_add3_u32 v37, 0, v37, -4
	v_add_u32_e32 v38, s23, v37
	ds_read_b32 v37, v37
	ds_read_b32 v39, v38
	s_waitcnt lgkmcnt(0)
	v_add_u32_e32 v37, v39, v37
	ds_write_b32 v38, v37
	s_branch .LBB0_121
.LBB0_124:                              ;   in Loop: Header=BB0_3 Depth=1
	v_mov_b32_e32 v38, s27
	s_waitcnt vmcnt(0) lgkmcnt(0)
	s_barrier
	ds_read_b32 v37, v4
	ds_read_b32 v38, v38
	s_waitcnt lgkmcnt(0)
	s_barrier
	s_and_saveexec_b64 s[20:21], s[2:3]
	s_cbranch_execz .LBB0_126
; %bb.125:                              ;   in Loop: Header=BB0_3 Depth=1
	v_mov_b32_e32 v39, s27
	ds_read_b32 v40, v4
	ds_read_b32 v41, v39
	s_waitcnt lgkmcnt(0)
	v_add_u32_e32 v40, v41, v40
	ds_write_b32 v39, v40
.LBB0_126:                              ;   in Loop: Header=BB0_3 Depth=1
	s_or_b64 exec, exec, s[20:21]
	v_cmp_ne_u32_e32 vcc, s9, v36
	s_and_saveexec_b64 s[20:21], vcc
	s_cbranch_execz .LBB0_128
; %bb.127:                              ;   in Loop: Header=BB0_3 Depth=1
	v_sub_u32_e32 v1, v37, v1
	v_add_u32_e32 v37, v1, v38
	v_ashrrev_i32_e32 v38, 31, v37
	v_lshlrev_b64 v[37:38], 2, v[37:38]
	v_mov_b32_e32 v1, s13
	v_add_co_u32_e32 v37, vcc, s12, v37
	v_addc_co_u32_e32 v38, vcc, v1, v38, vcc
	global_store_dword v[37:38], v36, off
.LBB0_128:                              ;   in Loop: Header=BB0_3 Depth=1
	s_or_b64 exec, exec, s[20:21]
	v_cmp_ne_u32_e32 vcc, s9, v35
	v_cndmask_b32_e64 v1, 0, 1, vcc
	s_and_b64 vcc, exec, s[4:5]
	s_mov_b32 s7, 1
	ds_write_b32 v4, v1
	s_cbranch_vccnz .LBB0_134
; %bb.129:                              ;   in Loop: Header=BB0_3 Depth=1
	s_mov_b32 s22, s26
.LBB0_130:                              ;   Parent Loop BB0_3 Depth=1
                                        ; =>  This Inner Loop Header: Depth=2
	s_lshr_b32 s23, s22, 1
	v_cmp_gt_u32_e32 vcc, s23, v0
	s_waitcnt vmcnt(0) lgkmcnt(0)
	s_barrier
	s_and_saveexec_b64 s[20:21], vcc
	s_cbranch_execz .LBB0_132
; %bb.131:                              ;   in Loop: Header=BB0_130 Depth=2
	v_mul_lo_u32 v36, s7, v5
	v_lshlrev_b32_e32 v36, 2, v36
	v_add3_u32 v36, 0, v36, -4
	v_lshl_add_u32 v37, s7, 2, v36
	ds_read_b32 v36, v36
	ds_read_b32 v38, v37
	s_waitcnt lgkmcnt(0)
	v_add_u32_e32 v36, v38, v36
	ds_write_b32 v37, v36
.LBB0_132:                              ;   in Loop: Header=BB0_130 Depth=2
	s_or_b64 exec, exec, s[20:21]
	s_lshl_b32 s7, s7, 1
	s_cmp_gt_u32 s22, 3
	s_cbranch_scc0 .LBB0_134
; %bb.133:                              ;   in Loop: Header=BB0_130 Depth=2
	s_mov_b32 s22, s23
	s_branch .LBB0_130
.LBB0_134:                              ;   in Loop: Header=BB0_3 Depth=1
	s_cmp_lt_i32 s7, s26
	s_cselect_b64 s[20:21], -1, 0
	v_cndmask_b32_e64 v36, 0, 1, s[20:21]
	v_readfirstlane_b32 s20, v36
	s_lshl_b32 s23, s7, s20
	s_ashr_i32 s7, s23, 1
	s_cmp_lt_i32 s7, 1
	s_cbranch_scc1 .LBB0_139
; %bb.135:                              ;   in Loop: Header=BB0_3 Depth=1
	s_mov_b32 s22, 0
	s_branch .LBB0_137
.LBB0_136:                              ;   in Loop: Header=BB0_137 Depth=2
	s_or_b64 exec, exec, s[20:21]
	s_lshl_b32 s20, s22, 1
	s_or_b32 s22, s20, 2
	s_cmp_lt_i32 s22, s7
	s_mov_b32 s23, s24
	s_cbranch_scc0 .LBB0_139
.LBB0_137:                              ;   Parent Loop BB0_3 Depth=1
                                        ; =>  This Inner Loop Header: Depth=2
	s_ashr_i32 s24, s23, 1
	v_cmp_ge_u32_e32 vcc, s22, v0
	s_waitcnt vmcnt(0) lgkmcnt(0)
	s_barrier
	s_and_saveexec_b64 s[20:21], vcc
	s_cbranch_execz .LBB0_136
; %bb.138:                              ;   in Loop: Header=BB0_137 Depth=2
	v_mul_lo_u32 v36, s24, v6
	s_and_b32 s23, s23, -4
	v_lshlrev_b32_e32 v36, 2, v36
	v_add3_u32 v36, 0, v36, -4
	v_add_u32_e32 v37, s23, v36
	ds_read_b32 v36, v36
	ds_read_b32 v38, v37
	s_waitcnt lgkmcnt(0)
	v_add_u32_e32 v36, v38, v36
	ds_write_b32 v37, v36
	s_branch .LBB0_136
.LBB0_139:                              ;   in Loop: Header=BB0_3 Depth=1
	v_mov_b32_e32 v37, s27
	s_waitcnt vmcnt(0) lgkmcnt(0)
	s_barrier
	ds_read_b32 v36, v4
	ds_read_b32 v37, v37
	s_waitcnt lgkmcnt(0)
	s_barrier
	s_and_saveexec_b64 s[20:21], s[2:3]
	s_cbranch_execz .LBB0_141
; %bb.140:                              ;   in Loop: Header=BB0_3 Depth=1
	v_mov_b32_e32 v38, s27
	ds_read_b32 v39, v4
	ds_read_b32 v40, v38
	s_waitcnt lgkmcnt(0)
	v_add_u32_e32 v39, v40, v39
	ds_write_b32 v38, v39
.LBB0_141:                              ;   in Loop: Header=BB0_3 Depth=1
	s_or_b64 exec, exec, s[20:21]
	v_cmp_ne_u32_e32 vcc, s9, v35
	s_and_saveexec_b64 s[20:21], vcc
	s_cbranch_execz .LBB0_143
; %bb.142:                              ;   in Loop: Header=BB0_3 Depth=1
	v_sub_u32_e32 v1, v36, v1
	v_add_u32_e32 v36, v1, v37
	v_ashrrev_i32_e32 v37, 31, v36
	v_lshlrev_b64 v[36:37], 2, v[36:37]
	v_mov_b32_e32 v1, s13
	v_add_co_u32_e32 v36, vcc, s12, v36
	v_addc_co_u32_e32 v37, vcc, v1, v37, vcc
	global_store_dword v[36:37], v35, off
.LBB0_143:                              ;   in Loop: Header=BB0_3 Depth=1
	s_or_b64 exec, exec, s[20:21]
	v_cmp_ne_u32_e32 vcc, s9, v34
	v_cndmask_b32_e64 v1, 0, 1, vcc
	s_and_b64 vcc, exec, s[4:5]
	s_mov_b32 s7, 1
	ds_write_b32 v4, v1
	s_cbranch_vccnz .LBB0_149
; %bb.144:                              ;   in Loop: Header=BB0_3 Depth=1
	s_mov_b32 s22, s26
.LBB0_145:                              ;   Parent Loop BB0_3 Depth=1
                                        ; =>  This Inner Loop Header: Depth=2
	s_lshr_b32 s23, s22, 1
	v_cmp_gt_u32_e32 vcc, s23, v0
	s_waitcnt vmcnt(0) lgkmcnt(0)
	s_barrier
	s_and_saveexec_b64 s[20:21], vcc
	s_cbranch_execz .LBB0_147
; %bb.146:                              ;   in Loop: Header=BB0_145 Depth=2
	v_mul_lo_u32 v35, s7, v5
	v_lshlrev_b32_e32 v35, 2, v35
	v_add3_u32 v35, 0, v35, -4
	v_lshl_add_u32 v36, s7, 2, v35
	ds_read_b32 v35, v35
	ds_read_b32 v37, v36
	s_waitcnt lgkmcnt(0)
	v_add_u32_e32 v35, v37, v35
	ds_write_b32 v36, v35
.LBB0_147:                              ;   in Loop: Header=BB0_145 Depth=2
	s_or_b64 exec, exec, s[20:21]
	s_lshl_b32 s7, s7, 1
	s_cmp_gt_u32 s22, 3
	s_cbranch_scc0 .LBB0_149
; %bb.148:                              ;   in Loop: Header=BB0_145 Depth=2
	s_mov_b32 s22, s23
	s_branch .LBB0_145
.LBB0_149:                              ;   in Loop: Header=BB0_3 Depth=1
	s_cmp_lt_i32 s7, s26
	s_cselect_b64 s[20:21], -1, 0
	v_cndmask_b32_e64 v35, 0, 1, s[20:21]
	v_readfirstlane_b32 s20, v35
	s_lshl_b32 s23, s7, s20
	s_ashr_i32 s7, s23, 1
	s_cmp_lt_i32 s7, 1
	s_cbranch_scc1 .LBB0_154
; %bb.150:                              ;   in Loop: Header=BB0_3 Depth=1
	s_mov_b32 s22, 0
	s_branch .LBB0_152
.LBB0_151:                              ;   in Loop: Header=BB0_152 Depth=2
	s_or_b64 exec, exec, s[20:21]
	s_lshl_b32 s20, s22, 1
	s_or_b32 s22, s20, 2
	s_cmp_lt_i32 s22, s7
	s_mov_b32 s23, s24
	s_cbranch_scc0 .LBB0_154
.LBB0_152:                              ;   Parent Loop BB0_3 Depth=1
                                        ; =>  This Inner Loop Header: Depth=2
	s_ashr_i32 s24, s23, 1
	v_cmp_ge_u32_e32 vcc, s22, v0
	s_waitcnt vmcnt(0) lgkmcnt(0)
	s_barrier
	s_and_saveexec_b64 s[20:21], vcc
	s_cbranch_execz .LBB0_151
; %bb.153:                              ;   in Loop: Header=BB0_152 Depth=2
	v_mul_lo_u32 v35, s24, v6
	s_and_b32 s23, s23, -4
	v_lshlrev_b32_e32 v35, 2, v35
	v_add3_u32 v35, 0, v35, -4
	v_add_u32_e32 v36, s23, v35
	ds_read_b32 v35, v35
	ds_read_b32 v37, v36
	s_waitcnt lgkmcnt(0)
	v_add_u32_e32 v35, v37, v35
	ds_write_b32 v36, v35
	s_branch .LBB0_151
.LBB0_154:                              ;   in Loop: Header=BB0_3 Depth=1
	v_mov_b32_e32 v36, s27
	s_waitcnt vmcnt(0) lgkmcnt(0)
	s_barrier
	ds_read_b32 v35, v4
	ds_read_b32 v36, v36
	s_waitcnt lgkmcnt(0)
	s_barrier
	s_and_saveexec_b64 s[20:21], s[2:3]
	s_cbranch_execz .LBB0_156
; %bb.155:                              ;   in Loop: Header=BB0_3 Depth=1
	v_mov_b32_e32 v37, s27
	ds_read_b32 v38, v4
	ds_read_b32 v39, v37
	s_waitcnt lgkmcnt(0)
	v_add_u32_e32 v38, v39, v38
	ds_write_b32 v37, v38
.LBB0_156:                              ;   in Loop: Header=BB0_3 Depth=1
	s_or_b64 exec, exec, s[20:21]
	v_cmp_ne_u32_e32 vcc, s9, v34
	s_and_saveexec_b64 s[20:21], vcc
	s_cbranch_execz .LBB0_158
; %bb.157:                              ;   in Loop: Header=BB0_3 Depth=1
	v_sub_u32_e32 v1, v35, v1
	v_add_u32_e32 v35, v1, v36
	v_ashrrev_i32_e32 v36, 31, v35
	v_lshlrev_b64 v[35:36], 2, v[35:36]
	v_mov_b32_e32 v1, s13
	v_add_co_u32_e32 v35, vcc, s12, v35
	v_addc_co_u32_e32 v36, vcc, v1, v36, vcc
	global_store_dword v[35:36], v34, off
.LBB0_158:                              ;   in Loop: Header=BB0_3 Depth=1
	s_or_b64 exec, exec, s[20:21]
	v_cmp_ne_u32_e32 vcc, s9, v33
	v_cndmask_b32_e64 v1, 0, 1, vcc
	s_and_b64 vcc, exec, s[4:5]
	s_mov_b32 s7, 1
	ds_write_b32 v4, v1
	s_cbranch_vccnz .LBB0_164
; %bb.159:                              ;   in Loop: Header=BB0_3 Depth=1
	s_mov_b32 s22, s26
.LBB0_160:                              ;   Parent Loop BB0_3 Depth=1
                                        ; =>  This Inner Loop Header: Depth=2
	s_lshr_b32 s23, s22, 1
	v_cmp_gt_u32_e32 vcc, s23, v0
	s_waitcnt vmcnt(0) lgkmcnt(0)
	s_barrier
	s_and_saveexec_b64 s[20:21], vcc
	s_cbranch_execz .LBB0_162
; %bb.161:                              ;   in Loop: Header=BB0_160 Depth=2
	v_mul_lo_u32 v34, s7, v5
	v_lshlrev_b32_e32 v34, 2, v34
	v_add3_u32 v34, 0, v34, -4
	v_lshl_add_u32 v35, s7, 2, v34
	ds_read_b32 v34, v34
	ds_read_b32 v36, v35
	s_waitcnt lgkmcnt(0)
	v_add_u32_e32 v34, v36, v34
	ds_write_b32 v35, v34
.LBB0_162:                              ;   in Loop: Header=BB0_160 Depth=2
	s_or_b64 exec, exec, s[20:21]
	s_lshl_b32 s7, s7, 1
	s_cmp_gt_u32 s22, 3
	s_cbranch_scc0 .LBB0_164
; %bb.163:                              ;   in Loop: Header=BB0_160 Depth=2
	s_mov_b32 s22, s23
	s_branch .LBB0_160
.LBB0_164:                              ;   in Loop: Header=BB0_3 Depth=1
	s_cmp_lt_i32 s7, s26
	s_cselect_b64 s[20:21], -1, 0
	v_cndmask_b32_e64 v34, 0, 1, s[20:21]
	v_readfirstlane_b32 s20, v34
	s_lshl_b32 s23, s7, s20
	s_ashr_i32 s7, s23, 1
	s_cmp_lt_i32 s7, 1
	s_cbranch_scc1 .LBB0_169
; %bb.165:                              ;   in Loop: Header=BB0_3 Depth=1
	s_mov_b32 s22, 0
	s_branch .LBB0_167
.LBB0_166:                              ;   in Loop: Header=BB0_167 Depth=2
	s_or_b64 exec, exec, s[20:21]
	s_lshl_b32 s20, s22, 1
	s_or_b32 s22, s20, 2
	s_cmp_lt_i32 s22, s7
	s_mov_b32 s23, s24
	s_cbranch_scc0 .LBB0_169
.LBB0_167:                              ;   Parent Loop BB0_3 Depth=1
                                        ; =>  This Inner Loop Header: Depth=2
	s_ashr_i32 s24, s23, 1
	v_cmp_ge_u32_e32 vcc, s22, v0
	s_waitcnt vmcnt(0) lgkmcnt(0)
	s_barrier
	s_and_saveexec_b64 s[20:21], vcc
	s_cbranch_execz .LBB0_166
; %bb.168:                              ;   in Loop: Header=BB0_167 Depth=2
	v_mul_lo_u32 v34, s24, v6
	s_and_b32 s23, s23, -4
	v_lshlrev_b32_e32 v34, 2, v34
	v_add3_u32 v34, 0, v34, -4
	v_add_u32_e32 v35, s23, v34
	ds_read_b32 v34, v34
	ds_read_b32 v36, v35
	s_waitcnt lgkmcnt(0)
	v_add_u32_e32 v34, v36, v34
	ds_write_b32 v35, v34
	s_branch .LBB0_166
.LBB0_169:                              ;   in Loop: Header=BB0_3 Depth=1
	v_mov_b32_e32 v35, s27
	s_waitcnt vmcnt(0) lgkmcnt(0)
	s_barrier
	ds_read_b32 v34, v4
	ds_read_b32 v35, v35
	s_waitcnt lgkmcnt(0)
	s_barrier
	s_and_saveexec_b64 s[20:21], s[2:3]
	s_cbranch_execz .LBB0_171
; %bb.170:                              ;   in Loop: Header=BB0_3 Depth=1
	v_mov_b32_e32 v36, s27
	ds_read_b32 v37, v4
	ds_read_b32 v38, v36
	s_waitcnt lgkmcnt(0)
	v_add_u32_e32 v37, v38, v37
	ds_write_b32 v36, v37
.LBB0_171:                              ;   in Loop: Header=BB0_3 Depth=1
	s_or_b64 exec, exec, s[20:21]
	v_cmp_ne_u32_e32 vcc, s9, v33
	s_and_saveexec_b64 s[20:21], vcc
	s_cbranch_execz .LBB0_173
; %bb.172:                              ;   in Loop: Header=BB0_3 Depth=1
	v_sub_u32_e32 v1, v34, v1
	v_add_u32_e32 v34, v1, v35
	v_ashrrev_i32_e32 v35, 31, v34
	v_lshlrev_b64 v[34:35], 2, v[34:35]
	v_mov_b32_e32 v1, s13
	v_add_co_u32_e32 v34, vcc, s12, v34
	v_addc_co_u32_e32 v35, vcc, v1, v35, vcc
	global_store_dword v[34:35], v33, off
.LBB0_173:                              ;   in Loop: Header=BB0_3 Depth=1
	s_or_b64 exec, exec, s[20:21]
	v_cmp_ne_u32_e32 vcc, s9, v32
	v_cndmask_b32_e64 v1, 0, 1, vcc
	s_and_b64 vcc, exec, s[4:5]
	s_mov_b32 s7, 1
	ds_write_b32 v4, v1
	s_cbranch_vccnz .LBB0_179
; %bb.174:                              ;   in Loop: Header=BB0_3 Depth=1
	s_mov_b32 s22, s26
.LBB0_175:                              ;   Parent Loop BB0_3 Depth=1
                                        ; =>  This Inner Loop Header: Depth=2
	s_lshr_b32 s23, s22, 1
	v_cmp_gt_u32_e32 vcc, s23, v0
	s_waitcnt vmcnt(0) lgkmcnt(0)
	s_barrier
	s_and_saveexec_b64 s[20:21], vcc
	s_cbranch_execz .LBB0_177
; %bb.176:                              ;   in Loop: Header=BB0_175 Depth=2
	v_mul_lo_u32 v33, s7, v5
	v_lshlrev_b32_e32 v33, 2, v33
	v_add3_u32 v33, 0, v33, -4
	v_lshl_add_u32 v34, s7, 2, v33
	ds_read_b32 v33, v33
	ds_read_b32 v35, v34
	s_waitcnt lgkmcnt(0)
	v_add_u32_e32 v33, v35, v33
	ds_write_b32 v34, v33
.LBB0_177:                              ;   in Loop: Header=BB0_175 Depth=2
	s_or_b64 exec, exec, s[20:21]
	s_lshl_b32 s7, s7, 1
	s_cmp_gt_u32 s22, 3
	s_cbranch_scc0 .LBB0_179
; %bb.178:                              ;   in Loop: Header=BB0_175 Depth=2
	s_mov_b32 s22, s23
	s_branch .LBB0_175
.LBB0_179:                              ;   in Loop: Header=BB0_3 Depth=1
	s_cmp_lt_i32 s7, s26
	s_cselect_b64 s[20:21], -1, 0
	v_cndmask_b32_e64 v33, 0, 1, s[20:21]
	v_readfirstlane_b32 s20, v33
	s_lshl_b32 s23, s7, s20
	s_ashr_i32 s7, s23, 1
	s_cmp_lt_i32 s7, 1
	s_cbranch_scc1 .LBB0_184
; %bb.180:                              ;   in Loop: Header=BB0_3 Depth=1
	s_mov_b32 s22, 0
	s_branch .LBB0_182
.LBB0_181:                              ;   in Loop: Header=BB0_182 Depth=2
	s_or_b64 exec, exec, s[20:21]
	s_lshl_b32 s20, s22, 1
	s_or_b32 s22, s20, 2
	s_cmp_lt_i32 s22, s7
	s_mov_b32 s23, s24
	s_cbranch_scc0 .LBB0_184
.LBB0_182:                              ;   Parent Loop BB0_3 Depth=1
                                        ; =>  This Inner Loop Header: Depth=2
	s_ashr_i32 s24, s23, 1
	v_cmp_ge_u32_e32 vcc, s22, v0
	s_waitcnt vmcnt(0) lgkmcnt(0)
	s_barrier
	s_and_saveexec_b64 s[20:21], vcc
	s_cbranch_execz .LBB0_181
; %bb.183:                              ;   in Loop: Header=BB0_182 Depth=2
	v_mul_lo_u32 v33, s24, v6
	s_and_b32 s23, s23, -4
	v_lshlrev_b32_e32 v33, 2, v33
	v_add3_u32 v33, 0, v33, -4
	v_add_u32_e32 v34, s23, v33
	ds_read_b32 v33, v33
	ds_read_b32 v35, v34
	s_waitcnt lgkmcnt(0)
	v_add_u32_e32 v33, v35, v33
	ds_write_b32 v34, v33
	s_branch .LBB0_181
.LBB0_184:                              ;   in Loop: Header=BB0_3 Depth=1
	v_mov_b32_e32 v34, s27
	s_waitcnt vmcnt(0) lgkmcnt(0)
	s_barrier
	ds_read_b32 v33, v4
	ds_read_b32 v34, v34
	s_waitcnt lgkmcnt(0)
	s_barrier
	s_and_saveexec_b64 s[20:21], s[2:3]
	s_cbranch_execz .LBB0_186
; %bb.185:                              ;   in Loop: Header=BB0_3 Depth=1
	v_mov_b32_e32 v35, s27
	ds_read_b32 v36, v4
	ds_read_b32 v37, v35
	s_waitcnt lgkmcnt(0)
	v_add_u32_e32 v36, v37, v36
	ds_write_b32 v35, v36
.LBB0_186:                              ;   in Loop: Header=BB0_3 Depth=1
	s_or_b64 exec, exec, s[20:21]
	v_cmp_ne_u32_e32 vcc, s9, v32
	s_and_saveexec_b64 s[20:21], vcc
	s_cbranch_execz .LBB0_188
; %bb.187:                              ;   in Loop: Header=BB0_3 Depth=1
	v_sub_u32_e32 v1, v33, v1
	v_add_u32_e32 v33, v1, v34
	v_ashrrev_i32_e32 v34, 31, v33
	v_lshlrev_b64 v[33:34], 2, v[33:34]
	v_mov_b32_e32 v1, s13
	v_add_co_u32_e32 v33, vcc, s12, v33
	v_addc_co_u32_e32 v34, vcc, v1, v34, vcc
	global_store_dword v[33:34], v32, off
.LBB0_188:                              ;   in Loop: Header=BB0_3 Depth=1
	s_or_b64 exec, exec, s[20:21]
	v_cmp_ne_u32_e32 vcc, s9, v31
	v_cndmask_b32_e64 v1, 0, 1, vcc
	s_and_b64 vcc, exec, s[4:5]
	s_mov_b32 s7, 1
	ds_write_b32 v4, v1
	s_cbranch_vccnz .LBB0_194
; %bb.189:                              ;   in Loop: Header=BB0_3 Depth=1
	s_mov_b32 s22, s26
.LBB0_190:                              ;   Parent Loop BB0_3 Depth=1
                                        ; =>  This Inner Loop Header: Depth=2
	s_lshr_b32 s23, s22, 1
	v_cmp_gt_u32_e32 vcc, s23, v0
	s_waitcnt vmcnt(0) lgkmcnt(0)
	s_barrier
	s_and_saveexec_b64 s[20:21], vcc
	s_cbranch_execz .LBB0_192
; %bb.191:                              ;   in Loop: Header=BB0_190 Depth=2
	v_mul_lo_u32 v32, s7, v5
	v_lshlrev_b32_e32 v32, 2, v32
	v_add3_u32 v32, 0, v32, -4
	v_lshl_add_u32 v33, s7, 2, v32
	ds_read_b32 v32, v32
	ds_read_b32 v34, v33
	s_waitcnt lgkmcnt(0)
	v_add_u32_e32 v32, v34, v32
	ds_write_b32 v33, v32
.LBB0_192:                              ;   in Loop: Header=BB0_190 Depth=2
	s_or_b64 exec, exec, s[20:21]
	s_lshl_b32 s7, s7, 1
	s_cmp_gt_u32 s22, 3
	s_cbranch_scc0 .LBB0_194
; %bb.193:                              ;   in Loop: Header=BB0_190 Depth=2
	s_mov_b32 s22, s23
	s_branch .LBB0_190
.LBB0_194:                              ;   in Loop: Header=BB0_3 Depth=1
	s_cmp_lt_i32 s7, s26
	s_cselect_b64 s[20:21], -1, 0
	v_cndmask_b32_e64 v32, 0, 1, s[20:21]
	v_readfirstlane_b32 s20, v32
	s_lshl_b32 s23, s7, s20
	s_ashr_i32 s7, s23, 1
	s_cmp_lt_i32 s7, 1
	s_cbranch_scc1 .LBB0_199
; %bb.195:                              ;   in Loop: Header=BB0_3 Depth=1
	s_mov_b32 s22, 0
	s_branch .LBB0_197
.LBB0_196:                              ;   in Loop: Header=BB0_197 Depth=2
	s_or_b64 exec, exec, s[20:21]
	s_lshl_b32 s20, s22, 1
	s_or_b32 s22, s20, 2
	s_cmp_lt_i32 s22, s7
	s_mov_b32 s23, s24
	s_cbranch_scc0 .LBB0_199
.LBB0_197:                              ;   Parent Loop BB0_3 Depth=1
                                        ; =>  This Inner Loop Header: Depth=2
	s_ashr_i32 s24, s23, 1
	v_cmp_ge_u32_e32 vcc, s22, v0
	s_waitcnt vmcnt(0) lgkmcnt(0)
	s_barrier
	s_and_saveexec_b64 s[20:21], vcc
	s_cbranch_execz .LBB0_196
; %bb.198:                              ;   in Loop: Header=BB0_197 Depth=2
	v_mul_lo_u32 v32, s24, v6
	s_and_b32 s23, s23, -4
	v_lshlrev_b32_e32 v32, 2, v32
	v_add3_u32 v32, 0, v32, -4
	v_add_u32_e32 v33, s23, v32
	ds_read_b32 v32, v32
	ds_read_b32 v34, v33
	s_waitcnt lgkmcnt(0)
	v_add_u32_e32 v32, v34, v32
	ds_write_b32 v33, v32
	s_branch .LBB0_196
.LBB0_199:                              ;   in Loop: Header=BB0_3 Depth=1
	v_mov_b32_e32 v33, s27
	s_waitcnt vmcnt(0) lgkmcnt(0)
	s_barrier
	ds_read_b32 v32, v4
	ds_read_b32 v33, v33
	s_waitcnt lgkmcnt(0)
	s_barrier
	s_and_saveexec_b64 s[20:21], s[2:3]
	s_cbranch_execz .LBB0_201
; %bb.200:                              ;   in Loop: Header=BB0_3 Depth=1
	v_mov_b32_e32 v34, s27
	ds_read_b32 v35, v4
	ds_read_b32 v36, v34
	s_waitcnt lgkmcnt(0)
	v_add_u32_e32 v35, v36, v35
	ds_write_b32 v34, v35
.LBB0_201:                              ;   in Loop: Header=BB0_3 Depth=1
	s_or_b64 exec, exec, s[20:21]
	v_cmp_ne_u32_e32 vcc, s9, v31
	s_and_saveexec_b64 s[20:21], vcc
	s_cbranch_execz .LBB0_203
; %bb.202:                              ;   in Loop: Header=BB0_3 Depth=1
	v_sub_u32_e32 v1, v32, v1
	v_add_u32_e32 v32, v1, v33
	v_ashrrev_i32_e32 v33, 31, v32
	v_lshlrev_b64 v[32:33], 2, v[32:33]
	v_mov_b32_e32 v1, s13
	v_add_co_u32_e32 v32, vcc, s12, v32
	v_addc_co_u32_e32 v33, vcc, v1, v33, vcc
	global_store_dword v[32:33], v31, off
.LBB0_203:                              ;   in Loop: Header=BB0_3 Depth=1
	s_or_b64 exec, exec, s[20:21]
	v_cmp_ne_u32_e32 vcc, s9, v30
	v_cndmask_b32_e64 v1, 0, 1, vcc
	s_and_b64 vcc, exec, s[4:5]
	s_mov_b32 s7, 1
	ds_write_b32 v4, v1
	s_cbranch_vccnz .LBB0_209
; %bb.204:                              ;   in Loop: Header=BB0_3 Depth=1
	s_mov_b32 s22, s26
.LBB0_205:                              ;   Parent Loop BB0_3 Depth=1
                                        ; =>  This Inner Loop Header: Depth=2
	s_lshr_b32 s23, s22, 1
	v_cmp_gt_u32_e32 vcc, s23, v0
	s_waitcnt vmcnt(0) lgkmcnt(0)
	s_barrier
	s_and_saveexec_b64 s[20:21], vcc
	s_cbranch_execz .LBB0_207
; %bb.206:                              ;   in Loop: Header=BB0_205 Depth=2
	v_mul_lo_u32 v31, s7, v5
	v_lshlrev_b32_e32 v31, 2, v31
	v_add3_u32 v31, 0, v31, -4
	v_lshl_add_u32 v32, s7, 2, v31
	ds_read_b32 v31, v31
	ds_read_b32 v33, v32
	s_waitcnt lgkmcnt(0)
	v_add_u32_e32 v31, v33, v31
	ds_write_b32 v32, v31
.LBB0_207:                              ;   in Loop: Header=BB0_205 Depth=2
	s_or_b64 exec, exec, s[20:21]
	s_lshl_b32 s7, s7, 1
	s_cmp_gt_u32 s22, 3
	s_cbranch_scc0 .LBB0_209
; %bb.208:                              ;   in Loop: Header=BB0_205 Depth=2
	s_mov_b32 s22, s23
	s_branch .LBB0_205
.LBB0_209:                              ;   in Loop: Header=BB0_3 Depth=1
	s_cmp_lt_i32 s7, s26
	s_cselect_b64 s[20:21], -1, 0
	v_cndmask_b32_e64 v31, 0, 1, s[20:21]
	v_readfirstlane_b32 s20, v31
	s_lshl_b32 s23, s7, s20
	s_ashr_i32 s7, s23, 1
	s_cmp_lt_i32 s7, 1
	s_cbranch_scc1 .LBB0_214
; %bb.210:                              ;   in Loop: Header=BB0_3 Depth=1
	s_mov_b32 s22, 0
	s_branch .LBB0_212
.LBB0_211:                              ;   in Loop: Header=BB0_212 Depth=2
	s_or_b64 exec, exec, s[20:21]
	s_lshl_b32 s20, s22, 1
	s_or_b32 s22, s20, 2
	s_cmp_lt_i32 s22, s7
	s_mov_b32 s23, s24
	s_cbranch_scc0 .LBB0_214
.LBB0_212:                              ;   Parent Loop BB0_3 Depth=1
                                        ; =>  This Inner Loop Header: Depth=2
	s_ashr_i32 s24, s23, 1
	v_cmp_ge_u32_e32 vcc, s22, v0
	s_waitcnt vmcnt(0) lgkmcnt(0)
	s_barrier
	s_and_saveexec_b64 s[20:21], vcc
	s_cbranch_execz .LBB0_211
; %bb.213:                              ;   in Loop: Header=BB0_212 Depth=2
	v_mul_lo_u32 v31, s24, v6
	s_and_b32 s23, s23, -4
	v_lshlrev_b32_e32 v31, 2, v31
	v_add3_u32 v31, 0, v31, -4
	v_add_u32_e32 v32, s23, v31
	ds_read_b32 v31, v31
	ds_read_b32 v33, v32
	s_waitcnt lgkmcnt(0)
	v_add_u32_e32 v31, v33, v31
	ds_write_b32 v32, v31
	s_branch .LBB0_211
.LBB0_214:                              ;   in Loop: Header=BB0_3 Depth=1
	v_mov_b32_e32 v32, s27
	s_waitcnt vmcnt(0) lgkmcnt(0)
	s_barrier
	ds_read_b32 v31, v4
	ds_read_b32 v32, v32
	s_waitcnt lgkmcnt(0)
	s_barrier
	s_and_saveexec_b64 s[20:21], s[2:3]
	s_cbranch_execz .LBB0_216
; %bb.215:                              ;   in Loop: Header=BB0_3 Depth=1
	v_mov_b32_e32 v33, s27
	ds_read_b32 v34, v4
	ds_read_b32 v35, v33
	s_waitcnt lgkmcnt(0)
	v_add_u32_e32 v34, v35, v34
	ds_write_b32 v33, v34
.LBB0_216:                              ;   in Loop: Header=BB0_3 Depth=1
	s_or_b64 exec, exec, s[20:21]
	v_cmp_ne_u32_e32 vcc, s9, v30
	s_and_saveexec_b64 s[20:21], vcc
	s_cbranch_execz .LBB0_218
; %bb.217:                              ;   in Loop: Header=BB0_3 Depth=1
	v_sub_u32_e32 v1, v31, v1
	v_add_u32_e32 v31, v1, v32
	v_ashrrev_i32_e32 v32, 31, v31
	v_lshlrev_b64 v[31:32], 2, v[31:32]
	v_mov_b32_e32 v1, s13
	v_add_co_u32_e32 v31, vcc, s12, v31
	v_addc_co_u32_e32 v32, vcc, v1, v32, vcc
	global_store_dword v[31:32], v30, off
.LBB0_218:                              ;   in Loop: Header=BB0_3 Depth=1
	s_or_b64 exec, exec, s[20:21]
	v_cmp_ne_u32_e32 vcc, s9, v29
	v_cndmask_b32_e64 v1, 0, 1, vcc
	s_and_b64 vcc, exec, s[4:5]
	s_mov_b32 s7, 1
	ds_write_b32 v4, v1
	s_cbranch_vccnz .LBB0_224
; %bb.219:                              ;   in Loop: Header=BB0_3 Depth=1
	s_mov_b32 s22, s26
.LBB0_220:                              ;   Parent Loop BB0_3 Depth=1
                                        ; =>  This Inner Loop Header: Depth=2
	s_lshr_b32 s23, s22, 1
	v_cmp_gt_u32_e32 vcc, s23, v0
	s_waitcnt vmcnt(0) lgkmcnt(0)
	s_barrier
	s_and_saveexec_b64 s[20:21], vcc
	s_cbranch_execz .LBB0_222
; %bb.221:                              ;   in Loop: Header=BB0_220 Depth=2
	v_mul_lo_u32 v30, s7, v5
	v_lshlrev_b32_e32 v30, 2, v30
	v_add3_u32 v30, 0, v30, -4
	v_lshl_add_u32 v31, s7, 2, v30
	ds_read_b32 v30, v30
	ds_read_b32 v32, v31
	s_waitcnt lgkmcnt(0)
	v_add_u32_e32 v30, v32, v30
	ds_write_b32 v31, v30
.LBB0_222:                              ;   in Loop: Header=BB0_220 Depth=2
	s_or_b64 exec, exec, s[20:21]
	s_lshl_b32 s7, s7, 1
	s_cmp_gt_u32 s22, 3
	s_cbranch_scc0 .LBB0_224
; %bb.223:                              ;   in Loop: Header=BB0_220 Depth=2
	s_mov_b32 s22, s23
	s_branch .LBB0_220
.LBB0_224:                              ;   in Loop: Header=BB0_3 Depth=1
	s_cmp_lt_i32 s7, s26
	s_cselect_b64 s[20:21], -1, 0
	v_cndmask_b32_e64 v30, 0, 1, s[20:21]
	v_readfirstlane_b32 s20, v30
	s_lshl_b32 s23, s7, s20
	s_ashr_i32 s7, s23, 1
	s_cmp_lt_i32 s7, 1
	s_cbranch_scc1 .LBB0_229
; %bb.225:                              ;   in Loop: Header=BB0_3 Depth=1
	s_mov_b32 s22, 0
	s_branch .LBB0_227
.LBB0_226:                              ;   in Loop: Header=BB0_227 Depth=2
	s_or_b64 exec, exec, s[20:21]
	s_lshl_b32 s20, s22, 1
	s_or_b32 s22, s20, 2
	s_cmp_lt_i32 s22, s7
	s_mov_b32 s23, s24
	s_cbranch_scc0 .LBB0_229
.LBB0_227:                              ;   Parent Loop BB0_3 Depth=1
                                        ; =>  This Inner Loop Header: Depth=2
	s_ashr_i32 s24, s23, 1
	v_cmp_ge_u32_e32 vcc, s22, v0
	s_waitcnt vmcnt(0) lgkmcnt(0)
	s_barrier
	s_and_saveexec_b64 s[20:21], vcc
	s_cbranch_execz .LBB0_226
; %bb.228:                              ;   in Loop: Header=BB0_227 Depth=2
	v_mul_lo_u32 v30, s24, v6
	s_and_b32 s23, s23, -4
	v_lshlrev_b32_e32 v30, 2, v30
	v_add3_u32 v30, 0, v30, -4
	v_add_u32_e32 v31, s23, v30
	ds_read_b32 v30, v30
	ds_read_b32 v32, v31
	s_waitcnt lgkmcnt(0)
	v_add_u32_e32 v30, v32, v30
	ds_write_b32 v31, v30
	s_branch .LBB0_226
.LBB0_229:                              ;   in Loop: Header=BB0_3 Depth=1
	v_mov_b32_e32 v31, s27
	s_waitcnt vmcnt(0) lgkmcnt(0)
	s_barrier
	ds_read_b32 v30, v4
	ds_read_b32 v31, v31
	s_waitcnt lgkmcnt(0)
	s_barrier
	s_and_saveexec_b64 s[20:21], s[2:3]
	s_cbranch_execz .LBB0_231
; %bb.230:                              ;   in Loop: Header=BB0_3 Depth=1
	v_mov_b32_e32 v32, s27
	ds_read_b32 v33, v4
	ds_read_b32 v34, v32
	s_waitcnt lgkmcnt(0)
	v_add_u32_e32 v33, v34, v33
	ds_write_b32 v32, v33
.LBB0_231:                              ;   in Loop: Header=BB0_3 Depth=1
	s_or_b64 exec, exec, s[20:21]
	v_cmp_ne_u32_e32 vcc, s9, v29
	s_and_saveexec_b64 s[20:21], vcc
	s_cbranch_execz .LBB0_233
; %bb.232:                              ;   in Loop: Header=BB0_3 Depth=1
	v_sub_u32_e32 v1, v30, v1
	v_add_u32_e32 v30, v1, v31
	v_ashrrev_i32_e32 v31, 31, v30
	v_lshlrev_b64 v[30:31], 2, v[30:31]
	v_mov_b32_e32 v1, s13
	v_add_co_u32_e32 v30, vcc, s12, v30
	v_addc_co_u32_e32 v31, vcc, v1, v31, vcc
	global_store_dword v[30:31], v29, off
.LBB0_233:                              ;   in Loop: Header=BB0_3 Depth=1
	s_or_b64 exec, exec, s[20:21]
	v_cmp_ne_u32_e32 vcc, s9, v28
	v_cndmask_b32_e64 v1, 0, 1, vcc
	s_and_b64 vcc, exec, s[4:5]
	s_mov_b32 s7, 1
	ds_write_b32 v4, v1
	s_cbranch_vccnz .LBB0_239
; %bb.234:                              ;   in Loop: Header=BB0_3 Depth=1
	s_mov_b32 s22, s26
.LBB0_235:                              ;   Parent Loop BB0_3 Depth=1
                                        ; =>  This Inner Loop Header: Depth=2
	s_lshr_b32 s23, s22, 1
	v_cmp_gt_u32_e32 vcc, s23, v0
	s_waitcnt vmcnt(0) lgkmcnt(0)
	s_barrier
	s_and_saveexec_b64 s[20:21], vcc
	s_cbranch_execz .LBB0_237
; %bb.236:                              ;   in Loop: Header=BB0_235 Depth=2
	v_mul_lo_u32 v29, s7, v5
	v_lshlrev_b32_e32 v29, 2, v29
	v_add3_u32 v29, 0, v29, -4
	v_lshl_add_u32 v30, s7, 2, v29
	ds_read_b32 v29, v29
	ds_read_b32 v31, v30
	s_waitcnt lgkmcnt(0)
	v_add_u32_e32 v29, v31, v29
	ds_write_b32 v30, v29
.LBB0_237:                              ;   in Loop: Header=BB0_235 Depth=2
	s_or_b64 exec, exec, s[20:21]
	s_lshl_b32 s7, s7, 1
	s_cmp_gt_u32 s22, 3
	s_cbranch_scc0 .LBB0_239
; %bb.238:                              ;   in Loop: Header=BB0_235 Depth=2
	s_mov_b32 s22, s23
	s_branch .LBB0_235
.LBB0_239:                              ;   in Loop: Header=BB0_3 Depth=1
	s_cmp_lt_i32 s7, s26
	s_cselect_b64 s[20:21], -1, 0
	v_cndmask_b32_e64 v29, 0, 1, s[20:21]
	v_readfirstlane_b32 s20, v29
	s_lshl_b32 s23, s7, s20
	s_ashr_i32 s7, s23, 1
	s_cmp_lt_i32 s7, 1
	s_cbranch_scc1 .LBB0_244
; %bb.240:                              ;   in Loop: Header=BB0_3 Depth=1
	s_mov_b32 s22, 0
	s_branch .LBB0_242
.LBB0_241:                              ;   in Loop: Header=BB0_242 Depth=2
	s_or_b64 exec, exec, s[20:21]
	s_lshl_b32 s20, s22, 1
	s_or_b32 s22, s20, 2
	s_cmp_lt_i32 s22, s7
	s_mov_b32 s23, s24
	s_cbranch_scc0 .LBB0_244
.LBB0_242:                              ;   Parent Loop BB0_3 Depth=1
                                        ; =>  This Inner Loop Header: Depth=2
	s_ashr_i32 s24, s23, 1
	v_cmp_ge_u32_e32 vcc, s22, v0
	s_waitcnt vmcnt(0) lgkmcnt(0)
	s_barrier
	s_and_saveexec_b64 s[20:21], vcc
	s_cbranch_execz .LBB0_241
; %bb.243:                              ;   in Loop: Header=BB0_242 Depth=2
	v_mul_lo_u32 v29, s24, v6
	s_and_b32 s23, s23, -4
	v_lshlrev_b32_e32 v29, 2, v29
	v_add3_u32 v29, 0, v29, -4
	v_add_u32_e32 v30, s23, v29
	ds_read_b32 v29, v29
	ds_read_b32 v31, v30
	s_waitcnt lgkmcnt(0)
	v_add_u32_e32 v29, v31, v29
	ds_write_b32 v30, v29
	s_branch .LBB0_241
.LBB0_244:                              ;   in Loop: Header=BB0_3 Depth=1
	v_mov_b32_e32 v30, s27
	s_waitcnt vmcnt(0) lgkmcnt(0)
	s_barrier
	ds_read_b32 v29, v4
	ds_read_b32 v30, v30
	s_waitcnt lgkmcnt(0)
	s_barrier
	s_and_saveexec_b64 s[20:21], s[2:3]
	s_cbranch_execz .LBB0_246
; %bb.245:                              ;   in Loop: Header=BB0_3 Depth=1
	v_mov_b32_e32 v31, s27
	ds_read_b32 v32, v4
	ds_read_b32 v33, v31
	s_waitcnt lgkmcnt(0)
	v_add_u32_e32 v32, v33, v32
	ds_write_b32 v31, v32
.LBB0_246:                              ;   in Loop: Header=BB0_3 Depth=1
	s_or_b64 exec, exec, s[20:21]
	v_cmp_ne_u32_e32 vcc, s9, v28
	s_and_saveexec_b64 s[20:21], vcc
	s_cbranch_execz .LBB0_248
; %bb.247:                              ;   in Loop: Header=BB0_3 Depth=1
	v_sub_u32_e32 v1, v29, v1
	v_add_u32_e32 v29, v1, v30
	v_ashrrev_i32_e32 v30, 31, v29
	v_lshlrev_b64 v[29:30], 2, v[29:30]
	v_mov_b32_e32 v1, s13
	v_add_co_u32_e32 v29, vcc, s12, v29
	v_addc_co_u32_e32 v30, vcc, v1, v30, vcc
	global_store_dword v[29:30], v28, off
.LBB0_248:                              ;   in Loop: Header=BB0_3 Depth=1
	s_or_b64 exec, exec, s[20:21]
	v_cmp_ne_u32_e32 vcc, s9, v27
	v_cndmask_b32_e64 v1, 0, 1, vcc
	s_and_b64 vcc, exec, s[4:5]
	s_mov_b32 s7, 1
	ds_write_b32 v4, v1
	s_cbranch_vccnz .LBB0_254
; %bb.249:                              ;   in Loop: Header=BB0_3 Depth=1
	s_mov_b32 s22, s26
.LBB0_250:                              ;   Parent Loop BB0_3 Depth=1
                                        ; =>  This Inner Loop Header: Depth=2
	s_lshr_b32 s23, s22, 1
	v_cmp_gt_u32_e32 vcc, s23, v0
	s_waitcnt vmcnt(0) lgkmcnt(0)
	s_barrier
	s_and_saveexec_b64 s[20:21], vcc
	s_cbranch_execz .LBB0_252
; %bb.251:                              ;   in Loop: Header=BB0_250 Depth=2
	v_mul_lo_u32 v28, s7, v5
	v_lshlrev_b32_e32 v28, 2, v28
	v_add3_u32 v28, 0, v28, -4
	v_lshl_add_u32 v29, s7, 2, v28
	ds_read_b32 v28, v28
	ds_read_b32 v30, v29
	s_waitcnt lgkmcnt(0)
	v_add_u32_e32 v28, v30, v28
	ds_write_b32 v29, v28
.LBB0_252:                              ;   in Loop: Header=BB0_250 Depth=2
	s_or_b64 exec, exec, s[20:21]
	s_lshl_b32 s7, s7, 1
	s_cmp_gt_u32 s22, 3
	s_cbranch_scc0 .LBB0_254
; %bb.253:                              ;   in Loop: Header=BB0_250 Depth=2
	s_mov_b32 s22, s23
	s_branch .LBB0_250
.LBB0_254:                              ;   in Loop: Header=BB0_3 Depth=1
	s_cmp_lt_i32 s7, s26
	s_cselect_b64 s[20:21], -1, 0
	v_cndmask_b32_e64 v28, 0, 1, s[20:21]
	v_readfirstlane_b32 s20, v28
	s_lshl_b32 s23, s7, s20
	s_ashr_i32 s7, s23, 1
	s_cmp_lt_i32 s7, 1
	s_cbranch_scc1 .LBB0_259
; %bb.255:                              ;   in Loop: Header=BB0_3 Depth=1
	s_mov_b32 s22, 0
	s_branch .LBB0_257
.LBB0_256:                              ;   in Loop: Header=BB0_257 Depth=2
	s_or_b64 exec, exec, s[20:21]
	s_lshl_b32 s20, s22, 1
	s_or_b32 s22, s20, 2
	s_cmp_lt_i32 s22, s7
	s_mov_b32 s23, s24
	s_cbranch_scc0 .LBB0_259
.LBB0_257:                              ;   Parent Loop BB0_3 Depth=1
                                        ; =>  This Inner Loop Header: Depth=2
	s_ashr_i32 s24, s23, 1
	v_cmp_ge_u32_e32 vcc, s22, v0
	s_waitcnt vmcnt(0) lgkmcnt(0)
	s_barrier
	s_and_saveexec_b64 s[20:21], vcc
	s_cbranch_execz .LBB0_256
; %bb.258:                              ;   in Loop: Header=BB0_257 Depth=2
	v_mul_lo_u32 v28, s24, v6
	s_and_b32 s23, s23, -4
	v_lshlrev_b32_e32 v28, 2, v28
	v_add3_u32 v28, 0, v28, -4
	v_add_u32_e32 v29, s23, v28
	ds_read_b32 v28, v28
	ds_read_b32 v30, v29
	s_waitcnt lgkmcnt(0)
	v_add_u32_e32 v28, v30, v28
	ds_write_b32 v29, v28
	s_branch .LBB0_256
.LBB0_259:                              ;   in Loop: Header=BB0_3 Depth=1
	v_mov_b32_e32 v29, s27
	s_waitcnt vmcnt(0) lgkmcnt(0)
	s_barrier
	ds_read_b32 v28, v4
	ds_read_b32 v29, v29
	s_waitcnt lgkmcnt(0)
	s_barrier
	s_and_saveexec_b64 s[20:21], s[2:3]
	s_cbranch_execz .LBB0_261
; %bb.260:                              ;   in Loop: Header=BB0_3 Depth=1
	v_mov_b32_e32 v30, s27
	ds_read_b32 v31, v4
	ds_read_b32 v32, v30
	s_waitcnt lgkmcnt(0)
	v_add_u32_e32 v31, v32, v31
	ds_write_b32 v30, v31
.LBB0_261:                              ;   in Loop: Header=BB0_3 Depth=1
	s_or_b64 exec, exec, s[20:21]
	v_cmp_ne_u32_e32 vcc, s9, v27
	s_and_saveexec_b64 s[20:21], vcc
	s_cbranch_execz .LBB0_263
; %bb.262:                              ;   in Loop: Header=BB0_3 Depth=1
	v_sub_u32_e32 v1, v28, v1
	v_add_u32_e32 v28, v1, v29
	v_ashrrev_i32_e32 v29, 31, v28
	v_lshlrev_b64 v[28:29], 2, v[28:29]
	v_mov_b32_e32 v1, s13
	v_add_co_u32_e32 v28, vcc, s12, v28
	v_addc_co_u32_e32 v29, vcc, v1, v29, vcc
	global_store_dword v[28:29], v27, off
.LBB0_263:                              ;   in Loop: Header=BB0_3 Depth=1
	s_or_b64 exec, exec, s[20:21]
	v_cmp_ne_u32_e32 vcc, s9, v26
	v_cndmask_b32_e64 v1, 0, 1, vcc
	s_and_b64 vcc, exec, s[4:5]
	s_mov_b32 s7, 1
	ds_write_b32 v4, v1
	s_cbranch_vccnz .LBB0_269
; %bb.264:                              ;   in Loop: Header=BB0_3 Depth=1
	s_mov_b32 s22, s26
.LBB0_265:                              ;   Parent Loop BB0_3 Depth=1
                                        ; =>  This Inner Loop Header: Depth=2
	s_lshr_b32 s23, s22, 1
	v_cmp_gt_u32_e32 vcc, s23, v0
	s_waitcnt vmcnt(0) lgkmcnt(0)
	s_barrier
	s_and_saveexec_b64 s[20:21], vcc
	s_cbranch_execz .LBB0_267
; %bb.266:                              ;   in Loop: Header=BB0_265 Depth=2
	v_mul_lo_u32 v27, s7, v5
	v_lshlrev_b32_e32 v27, 2, v27
	v_add3_u32 v27, 0, v27, -4
	v_lshl_add_u32 v28, s7, 2, v27
	ds_read_b32 v27, v27
	ds_read_b32 v29, v28
	s_waitcnt lgkmcnt(0)
	v_add_u32_e32 v27, v29, v27
	ds_write_b32 v28, v27
.LBB0_267:                              ;   in Loop: Header=BB0_265 Depth=2
	s_or_b64 exec, exec, s[20:21]
	s_lshl_b32 s7, s7, 1
	s_cmp_gt_u32 s22, 3
	s_cbranch_scc0 .LBB0_269
; %bb.268:                              ;   in Loop: Header=BB0_265 Depth=2
	s_mov_b32 s22, s23
	s_branch .LBB0_265
.LBB0_269:                              ;   in Loop: Header=BB0_3 Depth=1
	s_cmp_lt_i32 s7, s26
	s_cselect_b64 s[20:21], -1, 0
	v_cndmask_b32_e64 v27, 0, 1, s[20:21]
	v_readfirstlane_b32 s20, v27
	s_lshl_b32 s23, s7, s20
	s_ashr_i32 s7, s23, 1
	s_cmp_lt_i32 s7, 1
	s_cbranch_scc1 .LBB0_274
; %bb.270:                              ;   in Loop: Header=BB0_3 Depth=1
	s_mov_b32 s22, 0
	s_branch .LBB0_272
.LBB0_271:                              ;   in Loop: Header=BB0_272 Depth=2
	s_or_b64 exec, exec, s[20:21]
	s_lshl_b32 s20, s22, 1
	s_or_b32 s22, s20, 2
	s_cmp_lt_i32 s22, s7
	s_mov_b32 s23, s24
	s_cbranch_scc0 .LBB0_274
.LBB0_272:                              ;   Parent Loop BB0_3 Depth=1
                                        ; =>  This Inner Loop Header: Depth=2
	s_ashr_i32 s24, s23, 1
	v_cmp_ge_u32_e32 vcc, s22, v0
	s_waitcnt vmcnt(0) lgkmcnt(0)
	s_barrier
	s_and_saveexec_b64 s[20:21], vcc
	s_cbranch_execz .LBB0_271
; %bb.273:                              ;   in Loop: Header=BB0_272 Depth=2
	v_mul_lo_u32 v27, s24, v6
	s_and_b32 s23, s23, -4
	v_lshlrev_b32_e32 v27, 2, v27
	v_add3_u32 v27, 0, v27, -4
	v_add_u32_e32 v28, s23, v27
	ds_read_b32 v27, v27
	ds_read_b32 v29, v28
	s_waitcnt lgkmcnt(0)
	v_add_u32_e32 v27, v29, v27
	ds_write_b32 v28, v27
	s_branch .LBB0_271
.LBB0_274:                              ;   in Loop: Header=BB0_3 Depth=1
	v_mov_b32_e32 v28, s27
	s_waitcnt vmcnt(0) lgkmcnt(0)
	s_barrier
	ds_read_b32 v27, v4
	ds_read_b32 v28, v28
	s_waitcnt lgkmcnt(0)
	s_barrier
	s_and_saveexec_b64 s[20:21], s[2:3]
	s_cbranch_execz .LBB0_276
; %bb.275:                              ;   in Loop: Header=BB0_3 Depth=1
	v_mov_b32_e32 v29, s27
	ds_read_b32 v30, v4
	ds_read_b32 v31, v29
	s_waitcnt lgkmcnt(0)
	v_add_u32_e32 v30, v31, v30
	ds_write_b32 v29, v30
.LBB0_276:                              ;   in Loop: Header=BB0_3 Depth=1
	s_or_b64 exec, exec, s[20:21]
	v_cmp_ne_u32_e32 vcc, s9, v26
	s_and_saveexec_b64 s[20:21], vcc
	s_cbranch_execz .LBB0_278
; %bb.277:                              ;   in Loop: Header=BB0_3 Depth=1
	v_sub_u32_e32 v1, v27, v1
	v_add_u32_e32 v27, v1, v28
	v_ashrrev_i32_e32 v28, 31, v27
	v_lshlrev_b64 v[27:28], 2, v[27:28]
	v_mov_b32_e32 v1, s13
	v_add_co_u32_e32 v27, vcc, s12, v27
	v_addc_co_u32_e32 v28, vcc, v1, v28, vcc
	global_store_dword v[27:28], v26, off
.LBB0_278:                              ;   in Loop: Header=BB0_3 Depth=1
	s_or_b64 exec, exec, s[20:21]
	v_cmp_ne_u32_e32 vcc, s9, v25
	v_cndmask_b32_e64 v1, 0, 1, vcc
	s_and_b64 vcc, exec, s[4:5]
	s_mov_b32 s7, 1
	ds_write_b32 v4, v1
	s_cbranch_vccnz .LBB0_284
; %bb.279:                              ;   in Loop: Header=BB0_3 Depth=1
	s_mov_b32 s22, s26
.LBB0_280:                              ;   Parent Loop BB0_3 Depth=1
                                        ; =>  This Inner Loop Header: Depth=2
	s_lshr_b32 s23, s22, 1
	v_cmp_gt_u32_e32 vcc, s23, v0
	s_waitcnt vmcnt(0) lgkmcnt(0)
	s_barrier
	s_and_saveexec_b64 s[20:21], vcc
	s_cbranch_execz .LBB0_282
; %bb.281:                              ;   in Loop: Header=BB0_280 Depth=2
	v_mul_lo_u32 v26, s7, v5
	v_lshlrev_b32_e32 v26, 2, v26
	v_add3_u32 v26, 0, v26, -4
	v_lshl_add_u32 v27, s7, 2, v26
	ds_read_b32 v26, v26
	ds_read_b32 v28, v27
	s_waitcnt lgkmcnt(0)
	v_add_u32_e32 v26, v28, v26
	ds_write_b32 v27, v26
.LBB0_282:                              ;   in Loop: Header=BB0_280 Depth=2
	s_or_b64 exec, exec, s[20:21]
	s_lshl_b32 s7, s7, 1
	s_cmp_gt_u32 s22, 3
	s_cbranch_scc0 .LBB0_284
; %bb.283:                              ;   in Loop: Header=BB0_280 Depth=2
	s_mov_b32 s22, s23
	s_branch .LBB0_280
.LBB0_284:                              ;   in Loop: Header=BB0_3 Depth=1
	s_cmp_lt_i32 s7, s26
	s_cselect_b64 s[20:21], -1, 0
	v_cndmask_b32_e64 v26, 0, 1, s[20:21]
	v_readfirstlane_b32 s20, v26
	s_lshl_b32 s23, s7, s20
	s_ashr_i32 s7, s23, 1
	s_cmp_lt_i32 s7, 1
	s_cbranch_scc1 .LBB0_289
; %bb.285:                              ;   in Loop: Header=BB0_3 Depth=1
	s_mov_b32 s22, 0
	s_branch .LBB0_287
.LBB0_286:                              ;   in Loop: Header=BB0_287 Depth=2
	s_or_b64 exec, exec, s[20:21]
	s_lshl_b32 s20, s22, 1
	s_or_b32 s22, s20, 2
	s_cmp_lt_i32 s22, s7
	s_mov_b32 s23, s24
	s_cbranch_scc0 .LBB0_289
.LBB0_287:                              ;   Parent Loop BB0_3 Depth=1
                                        ; =>  This Inner Loop Header: Depth=2
	s_ashr_i32 s24, s23, 1
	v_cmp_ge_u32_e32 vcc, s22, v0
	s_waitcnt vmcnt(0) lgkmcnt(0)
	s_barrier
	s_and_saveexec_b64 s[20:21], vcc
	s_cbranch_execz .LBB0_286
; %bb.288:                              ;   in Loop: Header=BB0_287 Depth=2
	v_mul_lo_u32 v26, s24, v6
	s_and_b32 s23, s23, -4
	v_lshlrev_b32_e32 v26, 2, v26
	v_add3_u32 v26, 0, v26, -4
	v_add_u32_e32 v27, s23, v26
	ds_read_b32 v26, v26
	ds_read_b32 v28, v27
	s_waitcnt lgkmcnt(0)
	v_add_u32_e32 v26, v28, v26
	ds_write_b32 v27, v26
	s_branch .LBB0_286
.LBB0_289:                              ;   in Loop: Header=BB0_3 Depth=1
	v_mov_b32_e32 v27, s27
	s_waitcnt vmcnt(0) lgkmcnt(0)
	s_barrier
	ds_read_b32 v26, v4
	ds_read_b32 v27, v27
	s_waitcnt lgkmcnt(0)
	s_barrier
	s_and_saveexec_b64 s[20:21], s[2:3]
	s_cbranch_execz .LBB0_291
; %bb.290:                              ;   in Loop: Header=BB0_3 Depth=1
	v_mov_b32_e32 v28, s27
	ds_read_b32 v29, v4
	ds_read_b32 v30, v28
	s_waitcnt lgkmcnt(0)
	v_add_u32_e32 v29, v30, v29
	ds_write_b32 v28, v29
.LBB0_291:                              ;   in Loop: Header=BB0_3 Depth=1
	s_or_b64 exec, exec, s[20:21]
	v_cmp_ne_u32_e32 vcc, s9, v25
	s_and_saveexec_b64 s[20:21], vcc
	s_cbranch_execz .LBB0_293
; %bb.292:                              ;   in Loop: Header=BB0_3 Depth=1
	v_sub_u32_e32 v1, v26, v1
	v_add_u32_e32 v26, v1, v27
	v_ashrrev_i32_e32 v27, 31, v26
	v_lshlrev_b64 v[26:27], 2, v[26:27]
	v_mov_b32_e32 v1, s13
	v_add_co_u32_e32 v26, vcc, s12, v26
	v_addc_co_u32_e32 v27, vcc, v1, v27, vcc
	global_store_dword v[26:27], v25, off
.LBB0_293:                              ;   in Loop: Header=BB0_3 Depth=1
	s_or_b64 exec, exec, s[20:21]
	v_cmp_ne_u32_e32 vcc, s9, v24
	v_cndmask_b32_e64 v1, 0, 1, vcc
	s_and_b64 vcc, exec, s[4:5]
	s_mov_b32 s7, 1
	ds_write_b32 v4, v1
	s_cbranch_vccnz .LBB0_299
; %bb.294:                              ;   in Loop: Header=BB0_3 Depth=1
	s_mov_b32 s22, s26
.LBB0_295:                              ;   Parent Loop BB0_3 Depth=1
                                        ; =>  This Inner Loop Header: Depth=2
	s_lshr_b32 s23, s22, 1
	v_cmp_gt_u32_e32 vcc, s23, v0
	s_waitcnt vmcnt(0) lgkmcnt(0)
	s_barrier
	s_and_saveexec_b64 s[20:21], vcc
	s_cbranch_execz .LBB0_297
; %bb.296:                              ;   in Loop: Header=BB0_295 Depth=2
	v_mul_lo_u32 v25, s7, v5
	v_lshlrev_b32_e32 v25, 2, v25
	v_add3_u32 v25, 0, v25, -4
	v_lshl_add_u32 v26, s7, 2, v25
	ds_read_b32 v25, v25
	ds_read_b32 v27, v26
	s_waitcnt lgkmcnt(0)
	v_add_u32_e32 v25, v27, v25
	ds_write_b32 v26, v25
.LBB0_297:                              ;   in Loop: Header=BB0_295 Depth=2
	s_or_b64 exec, exec, s[20:21]
	s_lshl_b32 s7, s7, 1
	s_cmp_gt_u32 s22, 3
	s_cbranch_scc0 .LBB0_299
; %bb.298:                              ;   in Loop: Header=BB0_295 Depth=2
	s_mov_b32 s22, s23
	s_branch .LBB0_295
.LBB0_299:                              ;   in Loop: Header=BB0_3 Depth=1
	s_cmp_lt_i32 s7, s26
	s_cselect_b64 s[20:21], -1, 0
	v_cndmask_b32_e64 v25, 0, 1, s[20:21]
	v_readfirstlane_b32 s20, v25
	s_lshl_b32 s23, s7, s20
	s_ashr_i32 s7, s23, 1
	s_cmp_lt_i32 s7, 1
	s_cbranch_scc1 .LBB0_304
; %bb.300:                              ;   in Loop: Header=BB0_3 Depth=1
	s_mov_b32 s22, 0
	s_branch .LBB0_302
.LBB0_301:                              ;   in Loop: Header=BB0_302 Depth=2
	s_or_b64 exec, exec, s[20:21]
	s_lshl_b32 s20, s22, 1
	s_or_b32 s22, s20, 2
	s_cmp_lt_i32 s22, s7
	s_mov_b32 s23, s24
	s_cbranch_scc0 .LBB0_304
.LBB0_302:                              ;   Parent Loop BB0_3 Depth=1
                                        ; =>  This Inner Loop Header: Depth=2
	s_ashr_i32 s24, s23, 1
	v_cmp_ge_u32_e32 vcc, s22, v0
	s_waitcnt vmcnt(0) lgkmcnt(0)
	s_barrier
	s_and_saveexec_b64 s[20:21], vcc
	s_cbranch_execz .LBB0_301
; %bb.303:                              ;   in Loop: Header=BB0_302 Depth=2
	v_mul_lo_u32 v25, s24, v6
	s_and_b32 s23, s23, -4
	v_lshlrev_b32_e32 v25, 2, v25
	v_add3_u32 v25, 0, v25, -4
	v_add_u32_e32 v26, s23, v25
	ds_read_b32 v25, v25
	ds_read_b32 v27, v26
	s_waitcnt lgkmcnt(0)
	v_add_u32_e32 v25, v27, v25
	ds_write_b32 v26, v25
	s_branch .LBB0_301
.LBB0_304:                              ;   in Loop: Header=BB0_3 Depth=1
	v_mov_b32_e32 v26, s27
	s_waitcnt vmcnt(0) lgkmcnt(0)
	s_barrier
	ds_read_b32 v25, v4
	ds_read_b32 v26, v26
	s_waitcnt lgkmcnt(0)
	s_barrier
	s_and_saveexec_b64 s[20:21], s[2:3]
	s_cbranch_execz .LBB0_306
; %bb.305:                              ;   in Loop: Header=BB0_3 Depth=1
	v_mov_b32_e32 v27, s27
	ds_read_b32 v28, v4
	ds_read_b32 v29, v27
	s_waitcnt lgkmcnt(0)
	v_add_u32_e32 v28, v29, v28
	ds_write_b32 v27, v28
.LBB0_306:                              ;   in Loop: Header=BB0_3 Depth=1
	s_or_b64 exec, exec, s[20:21]
	v_cmp_ne_u32_e32 vcc, s9, v24
	s_and_saveexec_b64 s[20:21], vcc
	s_cbranch_execz .LBB0_308
; %bb.307:                              ;   in Loop: Header=BB0_3 Depth=1
	v_sub_u32_e32 v1, v25, v1
	v_add_u32_e32 v25, v1, v26
	v_ashrrev_i32_e32 v26, 31, v25
	v_lshlrev_b64 v[25:26], 2, v[25:26]
	v_mov_b32_e32 v1, s13
	v_add_co_u32_e32 v25, vcc, s12, v25
	v_addc_co_u32_e32 v26, vcc, v1, v26, vcc
	global_store_dword v[25:26], v24, off
.LBB0_308:                              ;   in Loop: Header=BB0_3 Depth=1
	s_or_b64 exec, exec, s[20:21]
	v_cmp_ne_u32_e32 vcc, s9, v23
	v_cndmask_b32_e64 v1, 0, 1, vcc
	s_and_b64 vcc, exec, s[4:5]
	s_mov_b32 s7, 1
	ds_write_b32 v4, v1
	s_cbranch_vccnz .LBB0_314
; %bb.309:                              ;   in Loop: Header=BB0_3 Depth=1
	s_mov_b32 s22, s26
.LBB0_310:                              ;   Parent Loop BB0_3 Depth=1
                                        ; =>  This Inner Loop Header: Depth=2
	s_lshr_b32 s23, s22, 1
	v_cmp_gt_u32_e32 vcc, s23, v0
	s_waitcnt vmcnt(0) lgkmcnt(0)
	s_barrier
	s_and_saveexec_b64 s[20:21], vcc
	s_cbranch_execz .LBB0_312
; %bb.311:                              ;   in Loop: Header=BB0_310 Depth=2
	v_mul_lo_u32 v24, s7, v5
	v_lshlrev_b32_e32 v24, 2, v24
	v_add3_u32 v24, 0, v24, -4
	v_lshl_add_u32 v25, s7, 2, v24
	ds_read_b32 v24, v24
	ds_read_b32 v26, v25
	s_waitcnt lgkmcnt(0)
	v_add_u32_e32 v24, v26, v24
	ds_write_b32 v25, v24
.LBB0_312:                              ;   in Loop: Header=BB0_310 Depth=2
	s_or_b64 exec, exec, s[20:21]
	s_lshl_b32 s7, s7, 1
	s_cmp_gt_u32 s22, 3
	s_cbranch_scc0 .LBB0_314
; %bb.313:                              ;   in Loop: Header=BB0_310 Depth=2
	s_mov_b32 s22, s23
	s_branch .LBB0_310
.LBB0_314:                              ;   in Loop: Header=BB0_3 Depth=1
	s_cmp_lt_i32 s7, s26
	s_cselect_b64 s[20:21], -1, 0
	v_cndmask_b32_e64 v24, 0, 1, s[20:21]
	v_readfirstlane_b32 s20, v24
	s_lshl_b32 s23, s7, s20
	s_ashr_i32 s7, s23, 1
	s_cmp_lt_i32 s7, 1
	s_cbranch_scc1 .LBB0_319
; %bb.315:                              ;   in Loop: Header=BB0_3 Depth=1
	s_mov_b32 s22, 0
	s_branch .LBB0_317
.LBB0_316:                              ;   in Loop: Header=BB0_317 Depth=2
	s_or_b64 exec, exec, s[20:21]
	s_lshl_b32 s20, s22, 1
	s_or_b32 s22, s20, 2
	s_cmp_lt_i32 s22, s7
	s_mov_b32 s23, s24
	s_cbranch_scc0 .LBB0_319
.LBB0_317:                              ;   Parent Loop BB0_3 Depth=1
                                        ; =>  This Inner Loop Header: Depth=2
	s_ashr_i32 s24, s23, 1
	v_cmp_ge_u32_e32 vcc, s22, v0
	s_waitcnt vmcnt(0) lgkmcnt(0)
	s_barrier
	s_and_saveexec_b64 s[20:21], vcc
	s_cbranch_execz .LBB0_316
; %bb.318:                              ;   in Loop: Header=BB0_317 Depth=2
	v_mul_lo_u32 v24, s24, v6
	s_and_b32 s23, s23, -4
	v_lshlrev_b32_e32 v24, 2, v24
	v_add3_u32 v24, 0, v24, -4
	v_add_u32_e32 v25, s23, v24
	ds_read_b32 v24, v24
	ds_read_b32 v26, v25
	s_waitcnt lgkmcnt(0)
	v_add_u32_e32 v24, v26, v24
	ds_write_b32 v25, v24
	s_branch .LBB0_316
.LBB0_319:                              ;   in Loop: Header=BB0_3 Depth=1
	v_mov_b32_e32 v25, s27
	s_waitcnt vmcnt(0) lgkmcnt(0)
	s_barrier
	ds_read_b32 v24, v4
	ds_read_b32 v25, v25
	s_waitcnt lgkmcnt(0)
	s_barrier
	s_and_saveexec_b64 s[20:21], s[2:3]
	s_cbranch_execz .LBB0_321
; %bb.320:                              ;   in Loop: Header=BB0_3 Depth=1
	v_mov_b32_e32 v26, s27
	ds_read_b32 v27, v4
	ds_read_b32 v28, v26
	s_waitcnt lgkmcnt(0)
	v_add_u32_e32 v27, v28, v27
	ds_write_b32 v26, v27
.LBB0_321:                              ;   in Loop: Header=BB0_3 Depth=1
	s_or_b64 exec, exec, s[20:21]
	v_cmp_ne_u32_e32 vcc, s9, v23
	s_and_saveexec_b64 s[20:21], vcc
	s_cbranch_execz .LBB0_323
; %bb.322:                              ;   in Loop: Header=BB0_3 Depth=1
	v_sub_u32_e32 v1, v24, v1
	v_add_u32_e32 v24, v1, v25
	v_ashrrev_i32_e32 v25, 31, v24
	v_lshlrev_b64 v[24:25], 2, v[24:25]
	v_mov_b32_e32 v1, s13
	v_add_co_u32_e32 v24, vcc, s12, v24
	v_addc_co_u32_e32 v25, vcc, v1, v25, vcc
	global_store_dword v[24:25], v23, off
.LBB0_323:                              ;   in Loop: Header=BB0_3 Depth=1
	s_or_b64 exec, exec, s[20:21]
	v_cmp_ne_u32_e32 vcc, s9, v22
	v_cndmask_b32_e64 v1, 0, 1, vcc
	s_and_b64 vcc, exec, s[4:5]
	s_mov_b32 s7, 1
	ds_write_b32 v4, v1
	s_cbranch_vccnz .LBB0_329
; %bb.324:                              ;   in Loop: Header=BB0_3 Depth=1
	s_mov_b32 s22, s26
.LBB0_325:                              ;   Parent Loop BB0_3 Depth=1
                                        ; =>  This Inner Loop Header: Depth=2
	s_lshr_b32 s23, s22, 1
	v_cmp_gt_u32_e32 vcc, s23, v0
	s_waitcnt vmcnt(0) lgkmcnt(0)
	s_barrier
	s_and_saveexec_b64 s[20:21], vcc
	s_cbranch_execz .LBB0_327
; %bb.326:                              ;   in Loop: Header=BB0_325 Depth=2
	v_mul_lo_u32 v23, s7, v5
	v_lshlrev_b32_e32 v23, 2, v23
	v_add3_u32 v23, 0, v23, -4
	v_lshl_add_u32 v24, s7, 2, v23
	ds_read_b32 v23, v23
	ds_read_b32 v25, v24
	s_waitcnt lgkmcnt(0)
	v_add_u32_e32 v23, v25, v23
	ds_write_b32 v24, v23
.LBB0_327:                              ;   in Loop: Header=BB0_325 Depth=2
	s_or_b64 exec, exec, s[20:21]
	s_lshl_b32 s7, s7, 1
	s_cmp_gt_u32 s22, 3
	s_cbranch_scc0 .LBB0_329
; %bb.328:                              ;   in Loop: Header=BB0_325 Depth=2
	s_mov_b32 s22, s23
	s_branch .LBB0_325
.LBB0_329:                              ;   in Loop: Header=BB0_3 Depth=1
	s_cmp_lt_i32 s7, s26
	s_cselect_b64 s[20:21], -1, 0
	v_cndmask_b32_e64 v23, 0, 1, s[20:21]
	v_readfirstlane_b32 s20, v23
	s_lshl_b32 s23, s7, s20
	s_ashr_i32 s7, s23, 1
	s_cmp_lt_i32 s7, 1
	s_cbranch_scc1 .LBB0_334
; %bb.330:                              ;   in Loop: Header=BB0_3 Depth=1
	s_mov_b32 s22, 0
	s_branch .LBB0_332
.LBB0_331:                              ;   in Loop: Header=BB0_332 Depth=2
	s_or_b64 exec, exec, s[20:21]
	s_lshl_b32 s20, s22, 1
	s_or_b32 s22, s20, 2
	s_cmp_lt_i32 s22, s7
	s_mov_b32 s23, s24
	s_cbranch_scc0 .LBB0_334
.LBB0_332:                              ;   Parent Loop BB0_3 Depth=1
                                        ; =>  This Inner Loop Header: Depth=2
	s_ashr_i32 s24, s23, 1
	v_cmp_ge_u32_e32 vcc, s22, v0
	s_waitcnt vmcnt(0) lgkmcnt(0)
	s_barrier
	s_and_saveexec_b64 s[20:21], vcc
	s_cbranch_execz .LBB0_331
; %bb.333:                              ;   in Loop: Header=BB0_332 Depth=2
	v_mul_lo_u32 v23, s24, v6
	s_and_b32 s23, s23, -4
	v_lshlrev_b32_e32 v23, 2, v23
	v_add3_u32 v23, 0, v23, -4
	v_add_u32_e32 v24, s23, v23
	ds_read_b32 v23, v23
	ds_read_b32 v25, v24
	s_waitcnt lgkmcnt(0)
	v_add_u32_e32 v23, v25, v23
	ds_write_b32 v24, v23
	s_branch .LBB0_331
.LBB0_334:                              ;   in Loop: Header=BB0_3 Depth=1
	v_mov_b32_e32 v24, s27
	s_waitcnt vmcnt(0) lgkmcnt(0)
	s_barrier
	ds_read_b32 v23, v4
	ds_read_b32 v24, v24
	s_waitcnt lgkmcnt(0)
	s_barrier
	s_and_saveexec_b64 s[20:21], s[2:3]
	s_cbranch_execz .LBB0_336
; %bb.335:                              ;   in Loop: Header=BB0_3 Depth=1
	v_mov_b32_e32 v25, s27
	ds_read_b32 v26, v4
	ds_read_b32 v27, v25
	s_waitcnt lgkmcnt(0)
	v_add_u32_e32 v26, v27, v26
	ds_write_b32 v25, v26
.LBB0_336:                              ;   in Loop: Header=BB0_3 Depth=1
	s_or_b64 exec, exec, s[20:21]
	v_cmp_ne_u32_e32 vcc, s9, v22
	s_and_saveexec_b64 s[20:21], vcc
	s_cbranch_execz .LBB0_338
; %bb.337:                              ;   in Loop: Header=BB0_3 Depth=1
	v_sub_u32_e32 v1, v23, v1
	v_add_u32_e32 v23, v1, v24
	v_ashrrev_i32_e32 v24, 31, v23
	v_lshlrev_b64 v[23:24], 2, v[23:24]
	v_mov_b32_e32 v1, s13
	v_add_co_u32_e32 v23, vcc, s12, v23
	v_addc_co_u32_e32 v24, vcc, v1, v24, vcc
	global_store_dword v[23:24], v22, off
.LBB0_338:                              ;   in Loop: Header=BB0_3 Depth=1
	s_or_b64 exec, exec, s[20:21]
	v_cmp_ne_u32_e32 vcc, s9, v21
	v_cndmask_b32_e64 v1, 0, 1, vcc
	s_and_b64 vcc, exec, s[4:5]
	s_mov_b32 s7, 1
	ds_write_b32 v4, v1
	s_cbranch_vccnz .LBB0_344
; %bb.339:                              ;   in Loop: Header=BB0_3 Depth=1
	s_mov_b32 s22, s26
.LBB0_340:                              ;   Parent Loop BB0_3 Depth=1
                                        ; =>  This Inner Loop Header: Depth=2
	s_lshr_b32 s23, s22, 1
	v_cmp_gt_u32_e32 vcc, s23, v0
	s_waitcnt vmcnt(0) lgkmcnt(0)
	s_barrier
	s_and_saveexec_b64 s[20:21], vcc
	s_cbranch_execz .LBB0_342
; %bb.341:                              ;   in Loop: Header=BB0_340 Depth=2
	v_mul_lo_u32 v22, s7, v5
	v_lshlrev_b32_e32 v22, 2, v22
	v_add3_u32 v22, 0, v22, -4
	v_lshl_add_u32 v23, s7, 2, v22
	ds_read_b32 v22, v22
	ds_read_b32 v24, v23
	s_waitcnt lgkmcnt(0)
	v_add_u32_e32 v22, v24, v22
	ds_write_b32 v23, v22
.LBB0_342:                              ;   in Loop: Header=BB0_340 Depth=2
	s_or_b64 exec, exec, s[20:21]
	s_lshl_b32 s7, s7, 1
	s_cmp_gt_u32 s22, 3
	s_cbranch_scc0 .LBB0_344
; %bb.343:                              ;   in Loop: Header=BB0_340 Depth=2
	s_mov_b32 s22, s23
	s_branch .LBB0_340
.LBB0_344:                              ;   in Loop: Header=BB0_3 Depth=1
	s_cmp_lt_i32 s7, s26
	s_cselect_b64 s[20:21], -1, 0
	v_cndmask_b32_e64 v22, 0, 1, s[20:21]
	v_readfirstlane_b32 s20, v22
	s_lshl_b32 s23, s7, s20
	s_ashr_i32 s7, s23, 1
	s_cmp_lt_i32 s7, 1
	s_cbranch_scc1 .LBB0_349
; %bb.345:                              ;   in Loop: Header=BB0_3 Depth=1
	s_mov_b32 s22, 0
	s_branch .LBB0_347
.LBB0_346:                              ;   in Loop: Header=BB0_347 Depth=2
	s_or_b64 exec, exec, s[20:21]
	s_lshl_b32 s20, s22, 1
	s_or_b32 s22, s20, 2
	s_cmp_lt_i32 s22, s7
	s_mov_b32 s23, s24
	s_cbranch_scc0 .LBB0_349
.LBB0_347:                              ;   Parent Loop BB0_3 Depth=1
                                        ; =>  This Inner Loop Header: Depth=2
	s_ashr_i32 s24, s23, 1
	v_cmp_ge_u32_e32 vcc, s22, v0
	s_waitcnt vmcnt(0) lgkmcnt(0)
	s_barrier
	s_and_saveexec_b64 s[20:21], vcc
	s_cbranch_execz .LBB0_346
; %bb.348:                              ;   in Loop: Header=BB0_347 Depth=2
	v_mul_lo_u32 v22, s24, v6
	s_and_b32 s23, s23, -4
	v_lshlrev_b32_e32 v22, 2, v22
	v_add3_u32 v22, 0, v22, -4
	v_add_u32_e32 v23, s23, v22
	ds_read_b32 v22, v22
	ds_read_b32 v24, v23
	s_waitcnt lgkmcnt(0)
	v_add_u32_e32 v22, v24, v22
	ds_write_b32 v23, v22
	s_branch .LBB0_346
.LBB0_349:                              ;   in Loop: Header=BB0_3 Depth=1
	v_mov_b32_e32 v23, s27
	s_waitcnt vmcnt(0) lgkmcnt(0)
	s_barrier
	ds_read_b32 v22, v4
	ds_read_b32 v23, v23
	s_waitcnt lgkmcnt(0)
	s_barrier
	s_and_saveexec_b64 s[20:21], s[2:3]
	s_cbranch_execz .LBB0_351
; %bb.350:                              ;   in Loop: Header=BB0_3 Depth=1
	v_mov_b32_e32 v24, s27
	ds_read_b32 v25, v4
	ds_read_b32 v26, v24
	s_waitcnt lgkmcnt(0)
	v_add_u32_e32 v25, v26, v25
	ds_write_b32 v24, v25
.LBB0_351:                              ;   in Loop: Header=BB0_3 Depth=1
	s_or_b64 exec, exec, s[20:21]
	v_cmp_ne_u32_e32 vcc, s9, v21
	s_and_saveexec_b64 s[20:21], vcc
	s_cbranch_execz .LBB0_353
; %bb.352:                              ;   in Loop: Header=BB0_3 Depth=1
	v_sub_u32_e32 v1, v22, v1
	v_add_u32_e32 v22, v1, v23
	v_ashrrev_i32_e32 v23, 31, v22
	v_lshlrev_b64 v[22:23], 2, v[22:23]
	v_mov_b32_e32 v1, s13
	v_add_co_u32_e32 v22, vcc, s12, v22
	v_addc_co_u32_e32 v23, vcc, v1, v23, vcc
	global_store_dword v[22:23], v21, off
.LBB0_353:                              ;   in Loop: Header=BB0_3 Depth=1
	s_or_b64 exec, exec, s[20:21]
	v_cmp_ne_u32_e32 vcc, s9, v20
	v_cndmask_b32_e64 v1, 0, 1, vcc
	s_and_b64 vcc, exec, s[4:5]
	s_mov_b32 s7, 1
	ds_write_b32 v4, v1
	s_cbranch_vccnz .LBB0_359
; %bb.354:                              ;   in Loop: Header=BB0_3 Depth=1
	s_mov_b32 s22, s26
.LBB0_355:                              ;   Parent Loop BB0_3 Depth=1
                                        ; =>  This Inner Loop Header: Depth=2
	s_lshr_b32 s23, s22, 1
	v_cmp_gt_u32_e32 vcc, s23, v0
	s_waitcnt vmcnt(0) lgkmcnt(0)
	s_barrier
	s_and_saveexec_b64 s[20:21], vcc
	s_cbranch_execz .LBB0_357
; %bb.356:                              ;   in Loop: Header=BB0_355 Depth=2
	v_mul_lo_u32 v21, s7, v5
	v_lshlrev_b32_e32 v21, 2, v21
	v_add3_u32 v21, 0, v21, -4
	v_lshl_add_u32 v22, s7, 2, v21
	ds_read_b32 v21, v21
	ds_read_b32 v23, v22
	s_waitcnt lgkmcnt(0)
	v_add_u32_e32 v21, v23, v21
	ds_write_b32 v22, v21
.LBB0_357:                              ;   in Loop: Header=BB0_355 Depth=2
	s_or_b64 exec, exec, s[20:21]
	s_lshl_b32 s7, s7, 1
	s_cmp_gt_u32 s22, 3
	s_cbranch_scc0 .LBB0_359
; %bb.358:                              ;   in Loop: Header=BB0_355 Depth=2
	s_mov_b32 s22, s23
	s_branch .LBB0_355
.LBB0_359:                              ;   in Loop: Header=BB0_3 Depth=1
	s_cmp_lt_i32 s7, s26
	s_cselect_b64 s[20:21], -1, 0
	v_cndmask_b32_e64 v21, 0, 1, s[20:21]
	v_readfirstlane_b32 s20, v21
	s_lshl_b32 s23, s7, s20
	s_ashr_i32 s7, s23, 1
	s_cmp_lt_i32 s7, 1
	s_cbranch_scc1 .LBB0_364
; %bb.360:                              ;   in Loop: Header=BB0_3 Depth=1
	s_mov_b32 s22, 0
	s_branch .LBB0_362
.LBB0_361:                              ;   in Loop: Header=BB0_362 Depth=2
	s_or_b64 exec, exec, s[20:21]
	s_lshl_b32 s20, s22, 1
	s_or_b32 s22, s20, 2
	s_cmp_lt_i32 s22, s7
	s_mov_b32 s23, s24
	s_cbranch_scc0 .LBB0_364
.LBB0_362:                              ;   Parent Loop BB0_3 Depth=1
                                        ; =>  This Inner Loop Header: Depth=2
	s_ashr_i32 s24, s23, 1
	v_cmp_ge_u32_e32 vcc, s22, v0
	s_waitcnt vmcnt(0) lgkmcnt(0)
	s_barrier
	s_and_saveexec_b64 s[20:21], vcc
	s_cbranch_execz .LBB0_361
; %bb.363:                              ;   in Loop: Header=BB0_362 Depth=2
	v_mul_lo_u32 v21, s24, v6
	s_and_b32 s23, s23, -4
	v_lshlrev_b32_e32 v21, 2, v21
	v_add3_u32 v21, 0, v21, -4
	v_add_u32_e32 v22, s23, v21
	ds_read_b32 v21, v21
	ds_read_b32 v23, v22
	s_waitcnt lgkmcnt(0)
	v_add_u32_e32 v21, v23, v21
	ds_write_b32 v22, v21
	s_branch .LBB0_361
.LBB0_364:                              ;   in Loop: Header=BB0_3 Depth=1
	v_mov_b32_e32 v22, s27
	s_waitcnt vmcnt(0) lgkmcnt(0)
	s_barrier
	ds_read_b32 v21, v4
	ds_read_b32 v22, v22
	s_waitcnt lgkmcnt(0)
	s_barrier
	s_and_saveexec_b64 s[20:21], s[2:3]
	s_cbranch_execz .LBB0_366
; %bb.365:                              ;   in Loop: Header=BB0_3 Depth=1
	v_mov_b32_e32 v23, s27
	ds_read_b32 v24, v4
	ds_read_b32 v25, v23
	s_waitcnt lgkmcnt(0)
	v_add_u32_e32 v24, v25, v24
	ds_write_b32 v23, v24
.LBB0_366:                              ;   in Loop: Header=BB0_3 Depth=1
	s_or_b64 exec, exec, s[20:21]
	v_cmp_ne_u32_e32 vcc, s9, v20
	s_and_saveexec_b64 s[20:21], vcc
	s_cbranch_execz .LBB0_368
; %bb.367:                              ;   in Loop: Header=BB0_3 Depth=1
	v_sub_u32_e32 v1, v21, v1
	v_add_u32_e32 v21, v1, v22
	v_ashrrev_i32_e32 v22, 31, v21
	v_lshlrev_b64 v[21:22], 2, v[21:22]
	v_mov_b32_e32 v1, s13
	v_add_co_u32_e32 v21, vcc, s12, v21
	v_addc_co_u32_e32 v22, vcc, v1, v22, vcc
	global_store_dword v[21:22], v20, off
.LBB0_368:                              ;   in Loop: Header=BB0_3 Depth=1
	s_or_b64 exec, exec, s[20:21]
	v_cmp_ne_u32_e32 vcc, s9, v19
	v_cndmask_b32_e64 v1, 0, 1, vcc
	s_and_b64 vcc, exec, s[4:5]
	s_mov_b32 s7, 1
	ds_write_b32 v4, v1
	s_cbranch_vccnz .LBB0_374
; %bb.369:                              ;   in Loop: Header=BB0_3 Depth=1
	s_mov_b32 s22, s26
.LBB0_370:                              ;   Parent Loop BB0_3 Depth=1
                                        ; =>  This Inner Loop Header: Depth=2
	s_lshr_b32 s23, s22, 1
	v_cmp_gt_u32_e32 vcc, s23, v0
	s_waitcnt vmcnt(0) lgkmcnt(0)
	s_barrier
	s_and_saveexec_b64 s[20:21], vcc
	s_cbranch_execz .LBB0_372
; %bb.371:                              ;   in Loop: Header=BB0_370 Depth=2
	v_mul_lo_u32 v20, s7, v5
	v_lshlrev_b32_e32 v20, 2, v20
	v_add3_u32 v20, 0, v20, -4
	v_lshl_add_u32 v21, s7, 2, v20
	ds_read_b32 v20, v20
	ds_read_b32 v22, v21
	s_waitcnt lgkmcnt(0)
	v_add_u32_e32 v20, v22, v20
	ds_write_b32 v21, v20
.LBB0_372:                              ;   in Loop: Header=BB0_370 Depth=2
	s_or_b64 exec, exec, s[20:21]
	s_lshl_b32 s7, s7, 1
	s_cmp_gt_u32 s22, 3
	s_cbranch_scc0 .LBB0_374
; %bb.373:                              ;   in Loop: Header=BB0_370 Depth=2
	s_mov_b32 s22, s23
	s_branch .LBB0_370
.LBB0_374:                              ;   in Loop: Header=BB0_3 Depth=1
	s_cmp_lt_i32 s7, s26
	s_cselect_b64 s[20:21], -1, 0
	v_cndmask_b32_e64 v20, 0, 1, s[20:21]
	v_readfirstlane_b32 s20, v20
	s_lshl_b32 s23, s7, s20
	s_ashr_i32 s7, s23, 1
	s_cmp_lt_i32 s7, 1
	s_cbranch_scc1 .LBB0_379
; %bb.375:                              ;   in Loop: Header=BB0_3 Depth=1
	s_mov_b32 s22, 0
	s_branch .LBB0_377
.LBB0_376:                              ;   in Loop: Header=BB0_377 Depth=2
	s_or_b64 exec, exec, s[20:21]
	s_lshl_b32 s20, s22, 1
	s_or_b32 s22, s20, 2
	s_cmp_lt_i32 s22, s7
	s_mov_b32 s23, s24
	s_cbranch_scc0 .LBB0_379
.LBB0_377:                              ;   Parent Loop BB0_3 Depth=1
                                        ; =>  This Inner Loop Header: Depth=2
	s_ashr_i32 s24, s23, 1
	v_cmp_ge_u32_e32 vcc, s22, v0
	s_waitcnt vmcnt(0) lgkmcnt(0)
	s_barrier
	s_and_saveexec_b64 s[20:21], vcc
	s_cbranch_execz .LBB0_376
; %bb.378:                              ;   in Loop: Header=BB0_377 Depth=2
	v_mul_lo_u32 v20, s24, v6
	s_and_b32 s23, s23, -4
	v_lshlrev_b32_e32 v20, 2, v20
	v_add3_u32 v20, 0, v20, -4
	v_add_u32_e32 v21, s23, v20
	ds_read_b32 v20, v20
	ds_read_b32 v22, v21
	s_waitcnt lgkmcnt(0)
	v_add_u32_e32 v20, v22, v20
	ds_write_b32 v21, v20
	s_branch .LBB0_376
.LBB0_379:                              ;   in Loop: Header=BB0_3 Depth=1
	v_mov_b32_e32 v21, s27
	s_waitcnt vmcnt(0) lgkmcnt(0)
	s_barrier
	ds_read_b32 v20, v4
	ds_read_b32 v21, v21
	s_waitcnt lgkmcnt(0)
	s_barrier
	s_and_saveexec_b64 s[20:21], s[2:3]
	s_cbranch_execz .LBB0_381
; %bb.380:                              ;   in Loop: Header=BB0_3 Depth=1
	v_mov_b32_e32 v22, s27
	ds_read_b32 v23, v4
	ds_read_b32 v24, v22
	s_waitcnt lgkmcnt(0)
	v_add_u32_e32 v23, v24, v23
	ds_write_b32 v22, v23
.LBB0_381:                              ;   in Loop: Header=BB0_3 Depth=1
	s_or_b64 exec, exec, s[20:21]
	v_cmp_ne_u32_e32 vcc, s9, v19
	s_and_saveexec_b64 s[20:21], vcc
	s_cbranch_execz .LBB0_383
; %bb.382:                              ;   in Loop: Header=BB0_3 Depth=1
	v_sub_u32_e32 v1, v20, v1
	v_add_u32_e32 v20, v1, v21
	v_ashrrev_i32_e32 v21, 31, v20
	v_lshlrev_b64 v[20:21], 2, v[20:21]
	v_mov_b32_e32 v1, s13
	v_add_co_u32_e32 v20, vcc, s12, v20
	v_addc_co_u32_e32 v21, vcc, v1, v21, vcc
	global_store_dword v[20:21], v19, off
.LBB0_383:                              ;   in Loop: Header=BB0_3 Depth=1
	s_or_b64 exec, exec, s[20:21]
	v_cmp_ne_u32_e32 vcc, s9, v18
	v_cndmask_b32_e64 v1, 0, 1, vcc
	s_and_b64 vcc, exec, s[4:5]
	s_mov_b32 s7, 1
	ds_write_b32 v4, v1
	s_cbranch_vccnz .LBB0_389
; %bb.384:                              ;   in Loop: Header=BB0_3 Depth=1
	s_mov_b32 s22, s26
.LBB0_385:                              ;   Parent Loop BB0_3 Depth=1
                                        ; =>  This Inner Loop Header: Depth=2
	s_lshr_b32 s23, s22, 1
	v_cmp_gt_u32_e32 vcc, s23, v0
	s_waitcnt vmcnt(0) lgkmcnt(0)
	s_barrier
	s_and_saveexec_b64 s[20:21], vcc
	s_cbranch_execz .LBB0_387
; %bb.386:                              ;   in Loop: Header=BB0_385 Depth=2
	v_mul_lo_u32 v19, s7, v5
	v_lshlrev_b32_e32 v19, 2, v19
	v_add3_u32 v19, 0, v19, -4
	v_lshl_add_u32 v20, s7, 2, v19
	ds_read_b32 v19, v19
	ds_read_b32 v21, v20
	s_waitcnt lgkmcnt(0)
	v_add_u32_e32 v19, v21, v19
	ds_write_b32 v20, v19
.LBB0_387:                              ;   in Loop: Header=BB0_385 Depth=2
	s_or_b64 exec, exec, s[20:21]
	s_lshl_b32 s7, s7, 1
	s_cmp_gt_u32 s22, 3
	s_cbranch_scc0 .LBB0_389
; %bb.388:                              ;   in Loop: Header=BB0_385 Depth=2
	s_mov_b32 s22, s23
	s_branch .LBB0_385
.LBB0_389:                              ;   in Loop: Header=BB0_3 Depth=1
	s_cmp_lt_i32 s7, s26
	s_cselect_b64 s[20:21], -1, 0
	v_cndmask_b32_e64 v19, 0, 1, s[20:21]
	v_readfirstlane_b32 s20, v19
	s_lshl_b32 s23, s7, s20
	s_ashr_i32 s7, s23, 1
	s_cmp_lt_i32 s7, 1
	s_cbranch_scc1 .LBB0_394
; %bb.390:                              ;   in Loop: Header=BB0_3 Depth=1
	s_mov_b32 s22, 0
	s_branch .LBB0_392
.LBB0_391:                              ;   in Loop: Header=BB0_392 Depth=2
	s_or_b64 exec, exec, s[20:21]
	s_lshl_b32 s20, s22, 1
	s_or_b32 s22, s20, 2
	s_cmp_lt_i32 s22, s7
	s_mov_b32 s23, s24
	s_cbranch_scc0 .LBB0_394
.LBB0_392:                              ;   Parent Loop BB0_3 Depth=1
                                        ; =>  This Inner Loop Header: Depth=2
	s_ashr_i32 s24, s23, 1
	v_cmp_ge_u32_e32 vcc, s22, v0
	s_waitcnt vmcnt(0) lgkmcnt(0)
	s_barrier
	s_and_saveexec_b64 s[20:21], vcc
	s_cbranch_execz .LBB0_391
; %bb.393:                              ;   in Loop: Header=BB0_392 Depth=2
	v_mul_lo_u32 v19, s24, v6
	s_and_b32 s23, s23, -4
	v_lshlrev_b32_e32 v19, 2, v19
	v_add3_u32 v19, 0, v19, -4
	v_add_u32_e32 v20, s23, v19
	ds_read_b32 v19, v19
	ds_read_b32 v21, v20
	s_waitcnt lgkmcnt(0)
	v_add_u32_e32 v19, v21, v19
	ds_write_b32 v20, v19
	s_branch .LBB0_391
.LBB0_394:                              ;   in Loop: Header=BB0_3 Depth=1
	v_mov_b32_e32 v20, s27
	s_waitcnt vmcnt(0) lgkmcnt(0)
	s_barrier
	ds_read_b32 v19, v4
	ds_read_b32 v20, v20
	s_waitcnt lgkmcnt(0)
	s_barrier
	s_and_saveexec_b64 s[20:21], s[2:3]
	s_cbranch_execz .LBB0_396
; %bb.395:                              ;   in Loop: Header=BB0_3 Depth=1
	v_mov_b32_e32 v21, s27
	ds_read_b32 v22, v4
	ds_read_b32 v23, v21
	s_waitcnt lgkmcnt(0)
	v_add_u32_e32 v22, v23, v22
	ds_write_b32 v21, v22
.LBB0_396:                              ;   in Loop: Header=BB0_3 Depth=1
	s_or_b64 exec, exec, s[20:21]
	v_cmp_ne_u32_e32 vcc, s9, v18
	s_and_saveexec_b64 s[20:21], vcc
	s_cbranch_execz .LBB0_398
; %bb.397:                              ;   in Loop: Header=BB0_3 Depth=1
	v_sub_u32_e32 v1, v19, v1
	v_add_u32_e32 v19, v1, v20
	v_ashrrev_i32_e32 v20, 31, v19
	v_lshlrev_b64 v[19:20], 2, v[19:20]
	v_mov_b32_e32 v1, s13
	v_add_co_u32_e32 v19, vcc, s12, v19
	v_addc_co_u32_e32 v20, vcc, v1, v20, vcc
	global_store_dword v[19:20], v18, off
.LBB0_398:                              ;   in Loop: Header=BB0_3 Depth=1
	s_or_b64 exec, exec, s[20:21]
	v_cmp_ne_u32_e32 vcc, s9, v17
	v_cndmask_b32_e64 v1, 0, 1, vcc
	s_and_b64 vcc, exec, s[4:5]
	s_mov_b32 s7, 1
	ds_write_b32 v4, v1
	s_cbranch_vccnz .LBB0_404
; %bb.399:                              ;   in Loop: Header=BB0_3 Depth=1
	s_mov_b32 s22, s26
.LBB0_400:                              ;   Parent Loop BB0_3 Depth=1
                                        ; =>  This Inner Loop Header: Depth=2
	s_lshr_b32 s23, s22, 1
	v_cmp_gt_u32_e32 vcc, s23, v0
	s_waitcnt vmcnt(0) lgkmcnt(0)
	s_barrier
	s_and_saveexec_b64 s[20:21], vcc
	s_cbranch_execz .LBB0_402
; %bb.401:                              ;   in Loop: Header=BB0_400 Depth=2
	v_mul_lo_u32 v18, s7, v5
	v_lshlrev_b32_e32 v18, 2, v18
	v_add3_u32 v18, 0, v18, -4
	v_lshl_add_u32 v19, s7, 2, v18
	ds_read_b32 v18, v18
	ds_read_b32 v20, v19
	s_waitcnt lgkmcnt(0)
	v_add_u32_e32 v18, v20, v18
	ds_write_b32 v19, v18
.LBB0_402:                              ;   in Loop: Header=BB0_400 Depth=2
	s_or_b64 exec, exec, s[20:21]
	s_lshl_b32 s7, s7, 1
	s_cmp_gt_u32 s22, 3
	s_cbranch_scc0 .LBB0_404
; %bb.403:                              ;   in Loop: Header=BB0_400 Depth=2
	s_mov_b32 s22, s23
	s_branch .LBB0_400
.LBB0_404:                              ;   in Loop: Header=BB0_3 Depth=1
	s_cmp_lt_i32 s7, s26
	s_cselect_b64 s[20:21], -1, 0
	v_cndmask_b32_e64 v18, 0, 1, s[20:21]
	v_readfirstlane_b32 s20, v18
	s_lshl_b32 s23, s7, s20
	s_ashr_i32 s7, s23, 1
	s_cmp_lt_i32 s7, 1
	s_cbranch_scc1 .LBB0_409
; %bb.405:                              ;   in Loop: Header=BB0_3 Depth=1
	s_mov_b32 s22, 0
	s_branch .LBB0_407
.LBB0_406:                              ;   in Loop: Header=BB0_407 Depth=2
	s_or_b64 exec, exec, s[20:21]
	s_lshl_b32 s20, s22, 1
	s_or_b32 s22, s20, 2
	s_cmp_lt_i32 s22, s7
	s_mov_b32 s23, s24
	s_cbranch_scc0 .LBB0_409
.LBB0_407:                              ;   Parent Loop BB0_3 Depth=1
                                        ; =>  This Inner Loop Header: Depth=2
	s_ashr_i32 s24, s23, 1
	v_cmp_ge_u32_e32 vcc, s22, v0
	s_waitcnt vmcnt(0) lgkmcnt(0)
	s_barrier
	s_and_saveexec_b64 s[20:21], vcc
	s_cbranch_execz .LBB0_406
; %bb.408:                              ;   in Loop: Header=BB0_407 Depth=2
	v_mul_lo_u32 v18, s24, v6
	s_and_b32 s23, s23, -4
	v_lshlrev_b32_e32 v18, 2, v18
	v_add3_u32 v18, 0, v18, -4
	v_add_u32_e32 v19, s23, v18
	ds_read_b32 v18, v18
	ds_read_b32 v20, v19
	s_waitcnt lgkmcnt(0)
	v_add_u32_e32 v18, v20, v18
	ds_write_b32 v19, v18
	s_branch .LBB0_406
.LBB0_409:                              ;   in Loop: Header=BB0_3 Depth=1
	v_mov_b32_e32 v19, s27
	s_waitcnt vmcnt(0) lgkmcnt(0)
	s_barrier
	ds_read_b32 v18, v4
	ds_read_b32 v19, v19
	s_waitcnt lgkmcnt(0)
	s_barrier
	s_and_saveexec_b64 s[20:21], s[2:3]
	s_cbranch_execz .LBB0_411
; %bb.410:                              ;   in Loop: Header=BB0_3 Depth=1
	v_mov_b32_e32 v20, s27
	ds_read_b32 v21, v4
	ds_read_b32 v22, v20
	s_waitcnt lgkmcnt(0)
	v_add_u32_e32 v21, v22, v21
	ds_write_b32 v20, v21
.LBB0_411:                              ;   in Loop: Header=BB0_3 Depth=1
	s_or_b64 exec, exec, s[20:21]
	v_cmp_ne_u32_e32 vcc, s9, v17
	s_and_saveexec_b64 s[20:21], vcc
	s_cbranch_execz .LBB0_413
; %bb.412:                              ;   in Loop: Header=BB0_3 Depth=1
	v_sub_u32_e32 v1, v18, v1
	v_add_u32_e32 v18, v1, v19
	v_ashrrev_i32_e32 v19, 31, v18
	v_lshlrev_b64 v[18:19], 2, v[18:19]
	v_mov_b32_e32 v1, s13
	v_add_co_u32_e32 v18, vcc, s12, v18
	v_addc_co_u32_e32 v19, vcc, v1, v19, vcc
	global_store_dword v[18:19], v17, off
.LBB0_413:                              ;   in Loop: Header=BB0_3 Depth=1
	s_or_b64 exec, exec, s[20:21]
	v_cmp_ne_u32_e32 vcc, s9, v16
	v_cndmask_b32_e64 v1, 0, 1, vcc
	s_and_b64 vcc, exec, s[4:5]
	s_mov_b32 s7, 1
	ds_write_b32 v4, v1
	s_cbranch_vccnz .LBB0_419
; %bb.414:                              ;   in Loop: Header=BB0_3 Depth=1
	s_mov_b32 s22, s26
.LBB0_415:                              ;   Parent Loop BB0_3 Depth=1
                                        ; =>  This Inner Loop Header: Depth=2
	s_lshr_b32 s23, s22, 1
	v_cmp_gt_u32_e32 vcc, s23, v0
	s_waitcnt vmcnt(0) lgkmcnt(0)
	s_barrier
	s_and_saveexec_b64 s[20:21], vcc
	s_cbranch_execz .LBB0_417
; %bb.416:                              ;   in Loop: Header=BB0_415 Depth=2
	v_mul_lo_u32 v17, s7, v5
	v_lshlrev_b32_e32 v17, 2, v17
	v_add3_u32 v17, 0, v17, -4
	v_lshl_add_u32 v18, s7, 2, v17
	ds_read_b32 v17, v17
	ds_read_b32 v19, v18
	s_waitcnt lgkmcnt(0)
	v_add_u32_e32 v17, v19, v17
	ds_write_b32 v18, v17
.LBB0_417:                              ;   in Loop: Header=BB0_415 Depth=2
	s_or_b64 exec, exec, s[20:21]
	s_lshl_b32 s7, s7, 1
	s_cmp_gt_u32 s22, 3
	s_cbranch_scc0 .LBB0_419
; %bb.418:                              ;   in Loop: Header=BB0_415 Depth=2
	s_mov_b32 s22, s23
	s_branch .LBB0_415
.LBB0_419:                              ;   in Loop: Header=BB0_3 Depth=1
	s_cmp_lt_i32 s7, s26
	s_cselect_b64 s[20:21], -1, 0
	v_cndmask_b32_e64 v17, 0, 1, s[20:21]
	v_readfirstlane_b32 s20, v17
	s_lshl_b32 s23, s7, s20
	s_ashr_i32 s7, s23, 1
	s_cmp_lt_i32 s7, 1
	s_cbranch_scc1 .LBB0_424
; %bb.420:                              ;   in Loop: Header=BB0_3 Depth=1
	s_mov_b32 s22, 0
	s_branch .LBB0_422
.LBB0_421:                              ;   in Loop: Header=BB0_422 Depth=2
	s_or_b64 exec, exec, s[20:21]
	s_lshl_b32 s20, s22, 1
	s_or_b32 s22, s20, 2
	s_cmp_lt_i32 s22, s7
	s_mov_b32 s23, s24
	s_cbranch_scc0 .LBB0_424
.LBB0_422:                              ;   Parent Loop BB0_3 Depth=1
                                        ; =>  This Inner Loop Header: Depth=2
	s_ashr_i32 s24, s23, 1
	v_cmp_ge_u32_e32 vcc, s22, v0
	s_waitcnt vmcnt(0) lgkmcnt(0)
	s_barrier
	s_and_saveexec_b64 s[20:21], vcc
	s_cbranch_execz .LBB0_421
; %bb.423:                              ;   in Loop: Header=BB0_422 Depth=2
	v_mul_lo_u32 v17, s24, v6
	s_and_b32 s23, s23, -4
	v_lshlrev_b32_e32 v17, 2, v17
	v_add3_u32 v17, 0, v17, -4
	v_add_u32_e32 v18, s23, v17
	ds_read_b32 v17, v17
	ds_read_b32 v19, v18
	s_waitcnt lgkmcnt(0)
	v_add_u32_e32 v17, v19, v17
	ds_write_b32 v18, v17
	s_branch .LBB0_421
.LBB0_424:                              ;   in Loop: Header=BB0_3 Depth=1
	v_mov_b32_e32 v18, s27
	s_waitcnt vmcnt(0) lgkmcnt(0)
	s_barrier
	ds_read_b32 v17, v4
	ds_read_b32 v18, v18
	s_waitcnt lgkmcnt(0)
	s_barrier
	s_and_saveexec_b64 s[20:21], s[2:3]
	s_cbranch_execz .LBB0_426
; %bb.425:                              ;   in Loop: Header=BB0_3 Depth=1
	v_mov_b32_e32 v19, s27
	ds_read_b32 v20, v4
	ds_read_b32 v21, v19
	s_waitcnt lgkmcnt(0)
	v_add_u32_e32 v20, v21, v20
	ds_write_b32 v19, v20
.LBB0_426:                              ;   in Loop: Header=BB0_3 Depth=1
	s_or_b64 exec, exec, s[20:21]
	v_cmp_ne_u32_e32 vcc, s9, v16
	s_and_saveexec_b64 s[20:21], vcc
	s_cbranch_execz .LBB0_428
; %bb.427:                              ;   in Loop: Header=BB0_3 Depth=1
	v_sub_u32_e32 v1, v17, v1
	v_add_u32_e32 v17, v1, v18
	v_ashrrev_i32_e32 v18, 31, v17
	v_lshlrev_b64 v[17:18], 2, v[17:18]
	v_mov_b32_e32 v1, s13
	v_add_co_u32_e32 v17, vcc, s12, v17
	v_addc_co_u32_e32 v18, vcc, v1, v18, vcc
	global_store_dword v[17:18], v16, off
.LBB0_428:                              ;   in Loop: Header=BB0_3 Depth=1
	s_or_b64 exec, exec, s[20:21]
	v_cmp_ne_u32_e32 vcc, s9, v15
	v_cndmask_b32_e64 v1, 0, 1, vcc
	s_and_b64 vcc, exec, s[4:5]
	s_mov_b32 s7, 1
	ds_write_b32 v4, v1
	s_cbranch_vccnz .LBB0_434
; %bb.429:                              ;   in Loop: Header=BB0_3 Depth=1
	s_mov_b32 s22, s26
.LBB0_430:                              ;   Parent Loop BB0_3 Depth=1
                                        ; =>  This Inner Loop Header: Depth=2
	s_lshr_b32 s23, s22, 1
	v_cmp_gt_u32_e32 vcc, s23, v0
	s_waitcnt vmcnt(0) lgkmcnt(0)
	s_barrier
	s_and_saveexec_b64 s[20:21], vcc
	s_cbranch_execz .LBB0_432
; %bb.431:                              ;   in Loop: Header=BB0_430 Depth=2
	v_mul_lo_u32 v16, s7, v5
	v_lshlrev_b32_e32 v16, 2, v16
	v_add3_u32 v16, 0, v16, -4
	v_lshl_add_u32 v17, s7, 2, v16
	ds_read_b32 v16, v16
	ds_read_b32 v18, v17
	s_waitcnt lgkmcnt(0)
	v_add_u32_e32 v16, v18, v16
	ds_write_b32 v17, v16
.LBB0_432:                              ;   in Loop: Header=BB0_430 Depth=2
	s_or_b64 exec, exec, s[20:21]
	s_lshl_b32 s7, s7, 1
	s_cmp_gt_u32 s22, 3
	s_cbranch_scc0 .LBB0_434
; %bb.433:                              ;   in Loop: Header=BB0_430 Depth=2
	s_mov_b32 s22, s23
	s_branch .LBB0_430
.LBB0_434:                              ;   in Loop: Header=BB0_3 Depth=1
	s_cmp_lt_i32 s7, s26
	s_cselect_b64 s[20:21], -1, 0
	v_cndmask_b32_e64 v16, 0, 1, s[20:21]
	v_readfirstlane_b32 s20, v16
	s_lshl_b32 s23, s7, s20
	s_ashr_i32 s7, s23, 1
	s_cmp_lt_i32 s7, 1
	s_cbranch_scc1 .LBB0_439
; %bb.435:                              ;   in Loop: Header=BB0_3 Depth=1
	s_mov_b32 s22, 0
	s_branch .LBB0_437
.LBB0_436:                              ;   in Loop: Header=BB0_437 Depth=2
	s_or_b64 exec, exec, s[20:21]
	s_lshl_b32 s20, s22, 1
	s_or_b32 s22, s20, 2
	s_cmp_lt_i32 s22, s7
	s_mov_b32 s23, s24
	s_cbranch_scc0 .LBB0_439
.LBB0_437:                              ;   Parent Loop BB0_3 Depth=1
                                        ; =>  This Inner Loop Header: Depth=2
	s_ashr_i32 s24, s23, 1
	v_cmp_ge_u32_e32 vcc, s22, v0
	s_waitcnt vmcnt(0) lgkmcnt(0)
	s_barrier
	s_and_saveexec_b64 s[20:21], vcc
	s_cbranch_execz .LBB0_436
; %bb.438:                              ;   in Loop: Header=BB0_437 Depth=2
	v_mul_lo_u32 v16, s24, v6
	s_and_b32 s23, s23, -4
	v_lshlrev_b32_e32 v16, 2, v16
	v_add3_u32 v16, 0, v16, -4
	v_add_u32_e32 v17, s23, v16
	ds_read_b32 v16, v16
	ds_read_b32 v18, v17
	s_waitcnt lgkmcnt(0)
	v_add_u32_e32 v16, v18, v16
	ds_write_b32 v17, v16
	s_branch .LBB0_436
.LBB0_439:                              ;   in Loop: Header=BB0_3 Depth=1
	v_mov_b32_e32 v17, s27
	s_waitcnt vmcnt(0) lgkmcnt(0)
	s_barrier
	ds_read_b32 v16, v4
	ds_read_b32 v17, v17
	s_waitcnt lgkmcnt(0)
	s_barrier
	s_and_saveexec_b64 s[20:21], s[2:3]
	s_cbranch_execz .LBB0_441
; %bb.440:                              ;   in Loop: Header=BB0_3 Depth=1
	v_mov_b32_e32 v18, s27
	ds_read_b32 v19, v4
	ds_read_b32 v20, v18
	s_waitcnt lgkmcnt(0)
	v_add_u32_e32 v19, v20, v19
	ds_write_b32 v18, v19
.LBB0_441:                              ;   in Loop: Header=BB0_3 Depth=1
	s_or_b64 exec, exec, s[20:21]
	v_cmp_ne_u32_e32 vcc, s9, v15
	s_and_saveexec_b64 s[20:21], vcc
	s_cbranch_execz .LBB0_443
; %bb.442:                              ;   in Loop: Header=BB0_3 Depth=1
	v_sub_u32_e32 v1, v16, v1
	v_add_u32_e32 v16, v1, v17
	v_ashrrev_i32_e32 v17, 31, v16
	v_lshlrev_b64 v[16:17], 2, v[16:17]
	v_mov_b32_e32 v1, s13
	v_add_co_u32_e32 v16, vcc, s12, v16
	v_addc_co_u32_e32 v17, vcc, v1, v17, vcc
	global_store_dword v[16:17], v15, off
.LBB0_443:                              ;   in Loop: Header=BB0_3 Depth=1
	s_or_b64 exec, exec, s[20:21]
	v_cmp_ne_u32_e32 vcc, s9, v14
	v_cndmask_b32_e64 v1, 0, 1, vcc
	s_and_b64 vcc, exec, s[4:5]
	s_mov_b32 s7, 1
	ds_write_b32 v4, v1
	s_cbranch_vccnz .LBB0_449
; %bb.444:                              ;   in Loop: Header=BB0_3 Depth=1
	s_mov_b32 s22, s26
.LBB0_445:                              ;   Parent Loop BB0_3 Depth=1
                                        ; =>  This Inner Loop Header: Depth=2
	s_lshr_b32 s23, s22, 1
	v_cmp_gt_u32_e32 vcc, s23, v0
	s_waitcnt vmcnt(0) lgkmcnt(0)
	s_barrier
	s_and_saveexec_b64 s[20:21], vcc
	s_cbranch_execz .LBB0_447
; %bb.446:                              ;   in Loop: Header=BB0_445 Depth=2
	v_mul_lo_u32 v15, s7, v5
	v_lshlrev_b32_e32 v15, 2, v15
	v_add3_u32 v15, 0, v15, -4
	v_lshl_add_u32 v16, s7, 2, v15
	ds_read_b32 v15, v15
	ds_read_b32 v17, v16
	s_waitcnt lgkmcnt(0)
	v_add_u32_e32 v15, v17, v15
	ds_write_b32 v16, v15
.LBB0_447:                              ;   in Loop: Header=BB0_445 Depth=2
	s_or_b64 exec, exec, s[20:21]
	s_lshl_b32 s7, s7, 1
	s_cmp_gt_u32 s22, 3
	s_cbranch_scc0 .LBB0_449
; %bb.448:                              ;   in Loop: Header=BB0_445 Depth=2
	s_mov_b32 s22, s23
	s_branch .LBB0_445
.LBB0_449:                              ;   in Loop: Header=BB0_3 Depth=1
	s_cmp_lt_i32 s7, s26
	s_cselect_b64 s[20:21], -1, 0
	v_cndmask_b32_e64 v15, 0, 1, s[20:21]
	v_readfirstlane_b32 s20, v15
	s_lshl_b32 s23, s7, s20
	s_ashr_i32 s7, s23, 1
	s_cmp_lt_i32 s7, 1
	s_cbranch_scc1 .LBB0_454
; %bb.450:                              ;   in Loop: Header=BB0_3 Depth=1
	s_mov_b32 s22, 0
	s_branch .LBB0_452
.LBB0_451:                              ;   in Loop: Header=BB0_452 Depth=2
	s_or_b64 exec, exec, s[20:21]
	s_lshl_b32 s20, s22, 1
	s_or_b32 s22, s20, 2
	s_cmp_lt_i32 s22, s7
	s_mov_b32 s23, s24
	s_cbranch_scc0 .LBB0_454
.LBB0_452:                              ;   Parent Loop BB0_3 Depth=1
                                        ; =>  This Inner Loop Header: Depth=2
	s_ashr_i32 s24, s23, 1
	v_cmp_ge_u32_e32 vcc, s22, v0
	s_waitcnt vmcnt(0) lgkmcnt(0)
	s_barrier
	s_and_saveexec_b64 s[20:21], vcc
	s_cbranch_execz .LBB0_451
; %bb.453:                              ;   in Loop: Header=BB0_452 Depth=2
	v_mul_lo_u32 v15, s24, v6
	s_and_b32 s23, s23, -4
	v_lshlrev_b32_e32 v15, 2, v15
	v_add3_u32 v15, 0, v15, -4
	v_add_u32_e32 v16, s23, v15
	ds_read_b32 v15, v15
	ds_read_b32 v17, v16
	s_waitcnt lgkmcnt(0)
	v_add_u32_e32 v15, v17, v15
	ds_write_b32 v16, v15
	s_branch .LBB0_451
.LBB0_454:                              ;   in Loop: Header=BB0_3 Depth=1
	v_mov_b32_e32 v16, s27
	s_waitcnt vmcnt(0) lgkmcnt(0)
	s_barrier
	ds_read_b32 v15, v4
	ds_read_b32 v16, v16
	s_waitcnt lgkmcnt(0)
	s_barrier
	s_and_saveexec_b64 s[20:21], s[2:3]
	s_cbranch_execz .LBB0_456
; %bb.455:                              ;   in Loop: Header=BB0_3 Depth=1
	v_mov_b32_e32 v17, s27
	ds_read_b32 v18, v4
	ds_read_b32 v19, v17
	s_waitcnt lgkmcnt(0)
	v_add_u32_e32 v18, v19, v18
	ds_write_b32 v17, v18
.LBB0_456:                              ;   in Loop: Header=BB0_3 Depth=1
	s_or_b64 exec, exec, s[20:21]
	v_cmp_ne_u32_e32 vcc, s9, v14
	s_and_saveexec_b64 s[20:21], vcc
	s_cbranch_execz .LBB0_458
; %bb.457:                              ;   in Loop: Header=BB0_3 Depth=1
	v_sub_u32_e32 v1, v15, v1
	v_add_u32_e32 v15, v1, v16
	v_ashrrev_i32_e32 v16, 31, v15
	v_lshlrev_b64 v[15:16], 2, v[15:16]
	v_mov_b32_e32 v1, s13
	v_add_co_u32_e32 v15, vcc, s12, v15
	v_addc_co_u32_e32 v16, vcc, v1, v16, vcc
	global_store_dword v[15:16], v14, off
.LBB0_458:                              ;   in Loop: Header=BB0_3 Depth=1
	s_or_b64 exec, exec, s[20:21]
	v_cmp_ne_u32_e32 vcc, s9, v13
	v_cndmask_b32_e64 v1, 0, 1, vcc
	s_and_b64 vcc, exec, s[4:5]
	s_mov_b32 s7, 1
	ds_write_b32 v4, v1
	s_cbranch_vccnz .LBB0_464
; %bb.459:                              ;   in Loop: Header=BB0_3 Depth=1
	s_mov_b32 s22, s26
.LBB0_460:                              ;   Parent Loop BB0_3 Depth=1
                                        ; =>  This Inner Loop Header: Depth=2
	s_lshr_b32 s23, s22, 1
	v_cmp_gt_u32_e32 vcc, s23, v0
	s_waitcnt vmcnt(0) lgkmcnt(0)
	s_barrier
	s_and_saveexec_b64 s[20:21], vcc
	s_cbranch_execz .LBB0_462
; %bb.461:                              ;   in Loop: Header=BB0_460 Depth=2
	v_mul_lo_u32 v14, s7, v5
	v_lshlrev_b32_e32 v14, 2, v14
	v_add3_u32 v14, 0, v14, -4
	v_lshl_add_u32 v15, s7, 2, v14
	ds_read_b32 v14, v14
	ds_read_b32 v16, v15
	s_waitcnt lgkmcnt(0)
	v_add_u32_e32 v14, v16, v14
	ds_write_b32 v15, v14
.LBB0_462:                              ;   in Loop: Header=BB0_460 Depth=2
	s_or_b64 exec, exec, s[20:21]
	s_lshl_b32 s7, s7, 1
	s_cmp_gt_u32 s22, 3
	s_cbranch_scc0 .LBB0_464
; %bb.463:                              ;   in Loop: Header=BB0_460 Depth=2
	s_mov_b32 s22, s23
	s_branch .LBB0_460
.LBB0_464:                              ;   in Loop: Header=BB0_3 Depth=1
	s_cmp_lt_i32 s7, s26
	s_cselect_b64 s[20:21], -1, 0
	v_cndmask_b32_e64 v14, 0, 1, s[20:21]
	v_readfirstlane_b32 s20, v14
	s_lshl_b32 s23, s7, s20
	s_ashr_i32 s7, s23, 1
	s_cmp_lt_i32 s7, 1
	s_cbranch_scc1 .LBB0_469
; %bb.465:                              ;   in Loop: Header=BB0_3 Depth=1
	s_mov_b32 s22, 0
	s_branch .LBB0_467
.LBB0_466:                              ;   in Loop: Header=BB0_467 Depth=2
	s_or_b64 exec, exec, s[20:21]
	s_lshl_b32 s20, s22, 1
	s_or_b32 s22, s20, 2
	s_cmp_lt_i32 s22, s7
	s_mov_b32 s23, s24
	s_cbranch_scc0 .LBB0_469
.LBB0_467:                              ;   Parent Loop BB0_3 Depth=1
                                        ; =>  This Inner Loop Header: Depth=2
	s_ashr_i32 s24, s23, 1
	v_cmp_ge_u32_e32 vcc, s22, v0
	s_waitcnt vmcnt(0) lgkmcnt(0)
	s_barrier
	s_and_saveexec_b64 s[20:21], vcc
	s_cbranch_execz .LBB0_466
; %bb.468:                              ;   in Loop: Header=BB0_467 Depth=2
	v_mul_lo_u32 v14, s24, v6
	s_and_b32 s23, s23, -4
	v_lshlrev_b32_e32 v14, 2, v14
	v_add3_u32 v14, 0, v14, -4
	v_add_u32_e32 v15, s23, v14
	ds_read_b32 v14, v14
	ds_read_b32 v16, v15
	s_waitcnt lgkmcnt(0)
	v_add_u32_e32 v14, v16, v14
	ds_write_b32 v15, v14
	s_branch .LBB0_466
.LBB0_469:                              ;   in Loop: Header=BB0_3 Depth=1
	v_mov_b32_e32 v15, s27
	s_waitcnt vmcnt(0) lgkmcnt(0)
	s_barrier
	ds_read_b32 v14, v4
	ds_read_b32 v15, v15
	s_waitcnt lgkmcnt(0)
	s_barrier
	s_and_saveexec_b64 s[20:21], s[2:3]
	s_cbranch_execz .LBB0_471
; %bb.470:                              ;   in Loop: Header=BB0_3 Depth=1
	v_mov_b32_e32 v16, s27
	ds_read_b32 v17, v4
	ds_read_b32 v18, v16
	s_waitcnt lgkmcnt(0)
	v_add_u32_e32 v17, v18, v17
	ds_write_b32 v16, v17
.LBB0_471:                              ;   in Loop: Header=BB0_3 Depth=1
	s_or_b64 exec, exec, s[20:21]
	v_cmp_ne_u32_e32 vcc, s9, v13
	s_and_saveexec_b64 s[20:21], vcc
	s_cbranch_execz .LBB0_473
; %bb.472:                              ;   in Loop: Header=BB0_3 Depth=1
	v_sub_u32_e32 v1, v14, v1
	v_add_u32_e32 v14, v1, v15
	v_ashrrev_i32_e32 v15, 31, v14
	v_lshlrev_b64 v[14:15], 2, v[14:15]
	v_mov_b32_e32 v1, s13
	v_add_co_u32_e32 v14, vcc, s12, v14
	v_addc_co_u32_e32 v15, vcc, v1, v15, vcc
	global_store_dword v[14:15], v13, off
.LBB0_473:                              ;   in Loop: Header=BB0_3 Depth=1
	s_or_b64 exec, exec, s[20:21]
	v_cmp_ne_u32_e32 vcc, s9, v12
	v_cndmask_b32_e64 v1, 0, 1, vcc
	s_and_b64 vcc, exec, s[4:5]
	s_mov_b32 s7, 1
	ds_write_b32 v4, v1
	s_cbranch_vccnz .LBB0_479
; %bb.474:                              ;   in Loop: Header=BB0_3 Depth=1
	s_mov_b32 s22, s26
.LBB0_475:                              ;   Parent Loop BB0_3 Depth=1
                                        ; =>  This Inner Loop Header: Depth=2
	s_lshr_b32 s23, s22, 1
	v_cmp_gt_u32_e32 vcc, s23, v0
	s_waitcnt vmcnt(0) lgkmcnt(0)
	s_barrier
	s_and_saveexec_b64 s[20:21], vcc
	s_cbranch_execz .LBB0_477
; %bb.476:                              ;   in Loop: Header=BB0_475 Depth=2
	v_mul_lo_u32 v13, s7, v5
	v_lshlrev_b32_e32 v13, 2, v13
	v_add3_u32 v13, 0, v13, -4
	v_lshl_add_u32 v14, s7, 2, v13
	ds_read_b32 v13, v13
	ds_read_b32 v15, v14
	s_waitcnt lgkmcnt(0)
	v_add_u32_e32 v13, v15, v13
	ds_write_b32 v14, v13
.LBB0_477:                              ;   in Loop: Header=BB0_475 Depth=2
	s_or_b64 exec, exec, s[20:21]
	s_lshl_b32 s7, s7, 1
	s_cmp_gt_u32 s22, 3
	s_cbranch_scc0 .LBB0_479
; %bb.478:                              ;   in Loop: Header=BB0_475 Depth=2
	s_mov_b32 s22, s23
	s_branch .LBB0_475
.LBB0_479:                              ;   in Loop: Header=BB0_3 Depth=1
	s_cmp_lt_i32 s7, s26
	s_cselect_b64 s[20:21], -1, 0
	v_cndmask_b32_e64 v13, 0, 1, s[20:21]
	v_readfirstlane_b32 s20, v13
	s_lshl_b32 s23, s7, s20
	s_ashr_i32 s7, s23, 1
	s_cmp_lt_i32 s7, 1
	s_cbranch_scc1 .LBB0_484
; %bb.480:                              ;   in Loop: Header=BB0_3 Depth=1
	s_mov_b32 s22, 0
	s_branch .LBB0_482
.LBB0_481:                              ;   in Loop: Header=BB0_482 Depth=2
	s_or_b64 exec, exec, s[20:21]
	s_lshl_b32 s20, s22, 1
	s_or_b32 s22, s20, 2
	s_cmp_lt_i32 s22, s7
	s_mov_b32 s23, s24
	s_cbranch_scc0 .LBB0_484
.LBB0_482:                              ;   Parent Loop BB0_3 Depth=1
                                        ; =>  This Inner Loop Header: Depth=2
	s_ashr_i32 s24, s23, 1
	v_cmp_ge_u32_e32 vcc, s22, v0
	s_waitcnt vmcnt(0) lgkmcnt(0)
	s_barrier
	s_and_saveexec_b64 s[20:21], vcc
	s_cbranch_execz .LBB0_481
; %bb.483:                              ;   in Loop: Header=BB0_482 Depth=2
	v_mul_lo_u32 v13, s24, v6
	s_and_b32 s23, s23, -4
	v_lshlrev_b32_e32 v13, 2, v13
	v_add3_u32 v13, 0, v13, -4
	v_add_u32_e32 v14, s23, v13
	ds_read_b32 v13, v13
	ds_read_b32 v15, v14
	s_waitcnt lgkmcnt(0)
	v_add_u32_e32 v13, v15, v13
	ds_write_b32 v14, v13
	s_branch .LBB0_481
.LBB0_484:                              ;   in Loop: Header=BB0_3 Depth=1
	v_mov_b32_e32 v14, s27
	s_waitcnt vmcnt(0) lgkmcnt(0)
	s_barrier
	ds_read_b32 v13, v4
	ds_read_b32 v14, v14
	s_waitcnt lgkmcnt(0)
	s_barrier
	s_and_saveexec_b64 s[20:21], s[2:3]
	s_cbranch_execz .LBB0_486
; %bb.485:                              ;   in Loop: Header=BB0_3 Depth=1
	v_mov_b32_e32 v15, s27
	ds_read_b32 v16, v4
	ds_read_b32 v17, v15
	s_waitcnt lgkmcnt(0)
	v_add_u32_e32 v16, v17, v16
	ds_write_b32 v15, v16
.LBB0_486:                              ;   in Loop: Header=BB0_3 Depth=1
	s_or_b64 exec, exec, s[20:21]
	v_cmp_ne_u32_e32 vcc, s9, v12
	s_and_saveexec_b64 s[20:21], vcc
	s_cbranch_execz .LBB0_488
; %bb.487:                              ;   in Loop: Header=BB0_3 Depth=1
	v_sub_u32_e32 v1, v13, v1
	v_add_u32_e32 v13, v1, v14
	v_ashrrev_i32_e32 v14, 31, v13
	v_lshlrev_b64 v[13:14], 2, v[13:14]
	v_mov_b32_e32 v1, s13
	v_add_co_u32_e32 v13, vcc, s12, v13
	v_addc_co_u32_e32 v14, vcc, v1, v14, vcc
	global_store_dword v[13:14], v12, off
.LBB0_488:                              ;   in Loop: Header=BB0_3 Depth=1
	s_or_b64 exec, exec, s[20:21]
	v_cmp_ne_u32_e32 vcc, s9, v11
	v_cndmask_b32_e64 v1, 0, 1, vcc
	s_and_b64 vcc, exec, s[4:5]
	s_mov_b32 s7, 1
	ds_write_b32 v4, v1
	s_cbranch_vccnz .LBB0_494
; %bb.489:                              ;   in Loop: Header=BB0_3 Depth=1
	s_mov_b32 s22, s26
.LBB0_490:                              ;   Parent Loop BB0_3 Depth=1
                                        ; =>  This Inner Loop Header: Depth=2
	s_lshr_b32 s23, s22, 1
	v_cmp_gt_u32_e32 vcc, s23, v0
	s_waitcnt vmcnt(0) lgkmcnt(0)
	s_barrier
	s_and_saveexec_b64 s[20:21], vcc
	s_cbranch_execz .LBB0_492
; %bb.491:                              ;   in Loop: Header=BB0_490 Depth=2
	v_mul_lo_u32 v12, s7, v5
	v_lshlrev_b32_e32 v12, 2, v12
	v_add3_u32 v12, 0, v12, -4
	v_lshl_add_u32 v13, s7, 2, v12
	ds_read_b32 v12, v12
	ds_read_b32 v14, v13
	s_waitcnt lgkmcnt(0)
	v_add_u32_e32 v12, v14, v12
	ds_write_b32 v13, v12
.LBB0_492:                              ;   in Loop: Header=BB0_490 Depth=2
	s_or_b64 exec, exec, s[20:21]
	s_lshl_b32 s7, s7, 1
	s_cmp_gt_u32 s22, 3
	s_cbranch_scc0 .LBB0_494
; %bb.493:                              ;   in Loop: Header=BB0_490 Depth=2
	s_mov_b32 s22, s23
	s_branch .LBB0_490
.LBB0_494:                              ;   in Loop: Header=BB0_3 Depth=1
	s_cmp_lt_i32 s7, s26
	s_cselect_b64 s[20:21], -1, 0
	v_cndmask_b32_e64 v12, 0, 1, s[20:21]
	v_readfirstlane_b32 s20, v12
	s_lshl_b32 s23, s7, s20
	s_ashr_i32 s7, s23, 1
	s_cmp_lt_i32 s7, 1
	s_cbranch_scc1 .LBB0_499
; %bb.495:                              ;   in Loop: Header=BB0_3 Depth=1
	s_mov_b32 s22, 0
	s_branch .LBB0_497
.LBB0_496:                              ;   in Loop: Header=BB0_497 Depth=2
	s_or_b64 exec, exec, s[20:21]
	s_lshl_b32 s20, s22, 1
	s_or_b32 s22, s20, 2
	s_cmp_lt_i32 s22, s7
	s_mov_b32 s23, s24
	s_cbranch_scc0 .LBB0_499
.LBB0_497:                              ;   Parent Loop BB0_3 Depth=1
                                        ; =>  This Inner Loop Header: Depth=2
	s_ashr_i32 s24, s23, 1
	v_cmp_ge_u32_e32 vcc, s22, v0
	s_waitcnt vmcnt(0) lgkmcnt(0)
	s_barrier
	s_and_saveexec_b64 s[20:21], vcc
	s_cbranch_execz .LBB0_496
; %bb.498:                              ;   in Loop: Header=BB0_497 Depth=2
	v_mul_lo_u32 v12, s24, v6
	s_and_b32 s23, s23, -4
	v_lshlrev_b32_e32 v12, 2, v12
	v_add3_u32 v12, 0, v12, -4
	v_add_u32_e32 v13, s23, v12
	ds_read_b32 v12, v12
	ds_read_b32 v14, v13
	s_waitcnt lgkmcnt(0)
	v_add_u32_e32 v12, v14, v12
	ds_write_b32 v13, v12
	s_branch .LBB0_496
.LBB0_499:                              ;   in Loop: Header=BB0_3 Depth=1
	v_mov_b32_e32 v13, s27
	s_waitcnt vmcnt(0) lgkmcnt(0)
	s_barrier
	ds_read_b32 v12, v4
	ds_read_b32 v13, v13
	s_waitcnt lgkmcnt(0)
	s_barrier
	s_and_saveexec_b64 s[20:21], s[2:3]
	s_cbranch_execz .LBB0_501
; %bb.500:                              ;   in Loop: Header=BB0_3 Depth=1
	v_mov_b32_e32 v14, s27
	ds_read_b32 v15, v4
	ds_read_b32 v16, v14
	s_waitcnt lgkmcnt(0)
	v_add_u32_e32 v15, v16, v15
	ds_write_b32 v14, v15
.LBB0_501:                              ;   in Loop: Header=BB0_3 Depth=1
	s_or_b64 exec, exec, s[20:21]
	v_cmp_ne_u32_e32 vcc, s9, v11
	s_and_saveexec_b64 s[20:21], vcc
	s_cbranch_execz .LBB0_503
; %bb.502:                              ;   in Loop: Header=BB0_3 Depth=1
	v_sub_u32_e32 v1, v12, v1
	v_add_u32_e32 v12, v1, v13
	v_ashrrev_i32_e32 v13, 31, v12
	v_lshlrev_b64 v[12:13], 2, v[12:13]
	v_mov_b32_e32 v1, s13
	v_add_co_u32_e32 v12, vcc, s12, v12
	v_addc_co_u32_e32 v13, vcc, v1, v13, vcc
	global_store_dword v[12:13], v11, off
.LBB0_503:                              ;   in Loop: Header=BB0_3 Depth=1
	s_or_b64 exec, exec, s[20:21]
	v_cmp_ne_u32_e32 vcc, s9, v10
	v_cndmask_b32_e64 v1, 0, 1, vcc
	s_and_b64 vcc, exec, s[4:5]
	s_mov_b32 s7, 1
	ds_write_b32 v4, v1
	s_cbranch_vccnz .LBB0_509
; %bb.504:                              ;   in Loop: Header=BB0_3 Depth=1
	s_mov_b32 s22, s26
.LBB0_505:                              ;   Parent Loop BB0_3 Depth=1
                                        ; =>  This Inner Loop Header: Depth=2
	s_lshr_b32 s23, s22, 1
	v_cmp_gt_u32_e32 vcc, s23, v0
	s_waitcnt vmcnt(0) lgkmcnt(0)
	s_barrier
	s_and_saveexec_b64 s[20:21], vcc
	s_cbranch_execz .LBB0_507
; %bb.506:                              ;   in Loop: Header=BB0_505 Depth=2
	v_mul_lo_u32 v11, s7, v5
	v_lshlrev_b32_e32 v11, 2, v11
	v_add3_u32 v11, 0, v11, -4
	v_lshl_add_u32 v12, s7, 2, v11
	ds_read_b32 v11, v11
	ds_read_b32 v13, v12
	s_waitcnt lgkmcnt(0)
	v_add_u32_e32 v11, v13, v11
	ds_write_b32 v12, v11
.LBB0_507:                              ;   in Loop: Header=BB0_505 Depth=2
	s_or_b64 exec, exec, s[20:21]
	s_lshl_b32 s7, s7, 1
	s_cmp_gt_u32 s22, 3
	s_cbranch_scc0 .LBB0_509
; %bb.508:                              ;   in Loop: Header=BB0_505 Depth=2
	s_mov_b32 s22, s23
	s_branch .LBB0_505
.LBB0_509:                              ;   in Loop: Header=BB0_3 Depth=1
	s_cmp_lt_i32 s7, s26
	s_cselect_b64 s[20:21], -1, 0
	v_cndmask_b32_e64 v11, 0, 1, s[20:21]
	v_readfirstlane_b32 s20, v11
	s_lshl_b32 s23, s7, s20
	s_ashr_i32 s7, s23, 1
	s_cmp_lt_i32 s7, 1
	s_cbranch_scc1 .LBB0_514
; %bb.510:                              ;   in Loop: Header=BB0_3 Depth=1
	s_mov_b32 s22, 0
	s_branch .LBB0_512
.LBB0_511:                              ;   in Loop: Header=BB0_512 Depth=2
	s_or_b64 exec, exec, s[20:21]
	s_lshl_b32 s20, s22, 1
	s_or_b32 s22, s20, 2
	s_cmp_lt_i32 s22, s7
	s_mov_b32 s23, s24
	s_cbranch_scc0 .LBB0_514
.LBB0_512:                              ;   Parent Loop BB0_3 Depth=1
                                        ; =>  This Inner Loop Header: Depth=2
	s_ashr_i32 s24, s23, 1
	v_cmp_ge_u32_e32 vcc, s22, v0
	s_waitcnt vmcnt(0) lgkmcnt(0)
	s_barrier
	s_and_saveexec_b64 s[20:21], vcc
	s_cbranch_execz .LBB0_511
; %bb.513:                              ;   in Loop: Header=BB0_512 Depth=2
	v_mul_lo_u32 v11, s24, v6
	s_and_b32 s23, s23, -4
	v_lshlrev_b32_e32 v11, 2, v11
	v_add3_u32 v11, 0, v11, -4
	v_add_u32_e32 v12, s23, v11
	ds_read_b32 v11, v11
	ds_read_b32 v13, v12
	s_waitcnt lgkmcnt(0)
	v_add_u32_e32 v11, v13, v11
	ds_write_b32 v12, v11
	s_branch .LBB0_511
.LBB0_514:                              ;   in Loop: Header=BB0_3 Depth=1
	v_mov_b32_e32 v12, s27
	s_waitcnt vmcnt(0) lgkmcnt(0)
	s_barrier
	ds_read_b32 v11, v4
	ds_read_b32 v12, v12
	s_waitcnt lgkmcnt(0)
	s_barrier
	s_and_saveexec_b64 s[20:21], s[2:3]
	s_cbranch_execz .LBB0_516
; %bb.515:                              ;   in Loop: Header=BB0_3 Depth=1
	v_mov_b32_e32 v13, s27
	ds_read_b32 v14, v4
	ds_read_b32 v15, v13
	s_waitcnt lgkmcnt(0)
	v_add_u32_e32 v14, v15, v14
	ds_write_b32 v13, v14
.LBB0_516:                              ;   in Loop: Header=BB0_3 Depth=1
	s_or_b64 exec, exec, s[20:21]
	v_cmp_ne_u32_e32 vcc, s9, v10
	s_and_saveexec_b64 s[20:21], vcc
	s_cbranch_execz .LBB0_518
; %bb.517:                              ;   in Loop: Header=BB0_3 Depth=1
	v_sub_u32_e32 v1, v11, v1
	v_add_u32_e32 v11, v1, v12
	v_ashrrev_i32_e32 v12, 31, v11
	v_lshlrev_b64 v[11:12], 2, v[11:12]
	v_mov_b32_e32 v1, s13
	v_add_co_u32_e32 v11, vcc, s12, v11
	v_addc_co_u32_e32 v12, vcc, v1, v12, vcc
	global_store_dword v[11:12], v10, off
.LBB0_518:                              ;   in Loop: Header=BB0_3 Depth=1
	s_or_b64 exec, exec, s[20:21]
	v_cmp_ne_u32_e32 vcc, s9, v9
	v_cndmask_b32_e64 v1, 0, 1, vcc
	s_and_b64 vcc, exec, s[4:5]
	s_mov_b32 s7, 1
	ds_write_b32 v4, v1
	s_cbranch_vccnz .LBB0_524
; %bb.519:                              ;   in Loop: Header=BB0_3 Depth=1
	s_mov_b32 s22, s26
.LBB0_520:                              ;   Parent Loop BB0_3 Depth=1
                                        ; =>  This Inner Loop Header: Depth=2
	s_lshr_b32 s23, s22, 1
	v_cmp_gt_u32_e32 vcc, s23, v0
	s_waitcnt vmcnt(0) lgkmcnt(0)
	s_barrier
	s_and_saveexec_b64 s[20:21], vcc
	s_cbranch_execz .LBB0_522
; %bb.521:                              ;   in Loop: Header=BB0_520 Depth=2
	v_mul_lo_u32 v10, s7, v5
	v_lshlrev_b32_e32 v10, 2, v10
	v_add3_u32 v10, 0, v10, -4
	v_lshl_add_u32 v11, s7, 2, v10
	ds_read_b32 v10, v10
	ds_read_b32 v12, v11
	s_waitcnt lgkmcnt(0)
	v_add_u32_e32 v10, v12, v10
	ds_write_b32 v11, v10
.LBB0_522:                              ;   in Loop: Header=BB0_520 Depth=2
	s_or_b64 exec, exec, s[20:21]
	s_lshl_b32 s7, s7, 1
	s_cmp_gt_u32 s22, 3
	s_cbranch_scc0 .LBB0_524
; %bb.523:                              ;   in Loop: Header=BB0_520 Depth=2
	s_mov_b32 s22, s23
	s_branch .LBB0_520
.LBB0_524:                              ;   in Loop: Header=BB0_3 Depth=1
	s_cmp_lt_i32 s7, s26
	s_cselect_b64 s[20:21], -1, 0
	v_cndmask_b32_e64 v10, 0, 1, s[20:21]
	v_readfirstlane_b32 s20, v10
	s_lshl_b32 s23, s7, s20
	s_ashr_i32 s7, s23, 1
	s_cmp_lt_i32 s7, 1
	s_cbranch_scc1 .LBB0_529
; %bb.525:                              ;   in Loop: Header=BB0_3 Depth=1
	s_mov_b32 s22, 0
	s_branch .LBB0_527
.LBB0_526:                              ;   in Loop: Header=BB0_527 Depth=2
	s_or_b64 exec, exec, s[20:21]
	s_lshl_b32 s20, s22, 1
	s_or_b32 s22, s20, 2
	s_cmp_lt_i32 s22, s7
	s_mov_b32 s23, s24
	s_cbranch_scc0 .LBB0_529
.LBB0_527:                              ;   Parent Loop BB0_3 Depth=1
                                        ; =>  This Inner Loop Header: Depth=2
	s_ashr_i32 s24, s23, 1
	v_cmp_ge_u32_e32 vcc, s22, v0
	s_waitcnt vmcnt(0) lgkmcnt(0)
	s_barrier
	s_and_saveexec_b64 s[20:21], vcc
	s_cbranch_execz .LBB0_526
; %bb.528:                              ;   in Loop: Header=BB0_527 Depth=2
	v_mul_lo_u32 v10, s24, v6
	s_and_b32 s23, s23, -4
	v_lshlrev_b32_e32 v10, 2, v10
	v_add3_u32 v10, 0, v10, -4
	v_add_u32_e32 v11, s23, v10
	ds_read_b32 v10, v10
	ds_read_b32 v12, v11
	s_waitcnt lgkmcnt(0)
	v_add_u32_e32 v10, v12, v10
	ds_write_b32 v11, v10
	s_branch .LBB0_526
.LBB0_529:                              ;   in Loop: Header=BB0_3 Depth=1
	v_mov_b32_e32 v11, s27
	s_waitcnt vmcnt(0) lgkmcnt(0)
	s_barrier
	ds_read_b32 v10, v4
	ds_read_b32 v11, v11
	s_waitcnt lgkmcnt(0)
	s_barrier
	s_and_saveexec_b64 s[20:21], s[2:3]
	s_cbranch_execz .LBB0_531
; %bb.530:                              ;   in Loop: Header=BB0_3 Depth=1
	v_mov_b32_e32 v12, s27
	ds_read_b32 v13, v4
	ds_read_b32 v14, v12
	s_waitcnt lgkmcnt(0)
	v_add_u32_e32 v13, v14, v13
	ds_write_b32 v12, v13
.LBB0_531:                              ;   in Loop: Header=BB0_3 Depth=1
	s_or_b64 exec, exec, s[20:21]
	v_cmp_ne_u32_e32 vcc, s9, v9
	s_and_saveexec_b64 s[20:21], vcc
	s_cbranch_execz .LBB0_533
; %bb.532:                              ;   in Loop: Header=BB0_3 Depth=1
	v_sub_u32_e32 v1, v10, v1
	v_add_u32_e32 v10, v1, v11
	v_ashrrev_i32_e32 v11, 31, v10
	v_lshlrev_b64 v[10:11], 2, v[10:11]
	v_mov_b32_e32 v1, s13
	v_add_co_u32_e32 v10, vcc, s12, v10
	v_addc_co_u32_e32 v11, vcc, v1, v11, vcc
	global_store_dword v[10:11], v9, off
.LBB0_533:                              ;   in Loop: Header=BB0_3 Depth=1
	s_or_b64 exec, exec, s[20:21]
	v_cmp_ne_u32_e32 vcc, s9, v8
	v_cndmask_b32_e64 v1, 0, 1, vcc
	s_and_b64 vcc, exec, s[4:5]
	s_mov_b32 s7, 1
	ds_write_b32 v4, v1
	s_cbranch_vccnz .LBB0_539
; %bb.534:                              ;   in Loop: Header=BB0_3 Depth=1
	s_mov_b32 s22, s26
.LBB0_535:                              ;   Parent Loop BB0_3 Depth=1
                                        ; =>  This Inner Loop Header: Depth=2
	s_lshr_b32 s23, s22, 1
	v_cmp_gt_u32_e32 vcc, s23, v0
	s_waitcnt vmcnt(0) lgkmcnt(0)
	s_barrier
	s_and_saveexec_b64 s[20:21], vcc
	s_cbranch_execz .LBB0_537
; %bb.536:                              ;   in Loop: Header=BB0_535 Depth=2
	v_mul_lo_u32 v9, s7, v5
	v_lshlrev_b32_e32 v9, 2, v9
	v_add3_u32 v9, 0, v9, -4
	v_lshl_add_u32 v10, s7, 2, v9
	ds_read_b32 v9, v9
	ds_read_b32 v11, v10
	s_waitcnt lgkmcnt(0)
	v_add_u32_e32 v9, v11, v9
	ds_write_b32 v10, v9
.LBB0_537:                              ;   in Loop: Header=BB0_535 Depth=2
	s_or_b64 exec, exec, s[20:21]
	s_lshl_b32 s7, s7, 1
	s_cmp_gt_u32 s22, 3
	s_cbranch_scc0 .LBB0_539
; %bb.538:                              ;   in Loop: Header=BB0_535 Depth=2
	s_mov_b32 s22, s23
	s_branch .LBB0_535
.LBB0_539:                              ;   in Loop: Header=BB0_3 Depth=1
	s_cmp_lt_i32 s7, s26
	s_cselect_b64 s[20:21], -1, 0
	v_cndmask_b32_e64 v9, 0, 1, s[20:21]
	v_readfirstlane_b32 s20, v9
	s_lshl_b32 s23, s7, s20
	s_ashr_i32 s7, s23, 1
	s_cmp_lt_i32 s7, 1
	s_cbranch_scc1 .LBB0_544
; %bb.540:                              ;   in Loop: Header=BB0_3 Depth=1
	s_mov_b32 s22, 0
	s_branch .LBB0_542
.LBB0_541:                              ;   in Loop: Header=BB0_542 Depth=2
	s_or_b64 exec, exec, s[20:21]
	s_lshl_b32 s20, s22, 1
	s_or_b32 s22, s20, 2
	s_cmp_lt_i32 s22, s7
	s_mov_b32 s23, s24
	s_cbranch_scc0 .LBB0_544
.LBB0_542:                              ;   Parent Loop BB0_3 Depth=1
                                        ; =>  This Inner Loop Header: Depth=2
	s_ashr_i32 s24, s23, 1
	v_cmp_ge_u32_e32 vcc, s22, v0
	s_waitcnt vmcnt(0) lgkmcnt(0)
	s_barrier
	s_and_saveexec_b64 s[20:21], vcc
	s_cbranch_execz .LBB0_541
; %bb.543:                              ;   in Loop: Header=BB0_542 Depth=2
	v_mul_lo_u32 v9, s24, v6
	s_and_b32 s23, s23, -4
	v_lshlrev_b32_e32 v9, 2, v9
	v_add3_u32 v9, 0, v9, -4
	v_add_u32_e32 v10, s23, v9
	ds_read_b32 v9, v9
	ds_read_b32 v11, v10
	s_waitcnt lgkmcnt(0)
	v_add_u32_e32 v9, v11, v9
	ds_write_b32 v10, v9
	s_branch .LBB0_541
.LBB0_544:                              ;   in Loop: Header=BB0_3 Depth=1
	v_mov_b32_e32 v10, s27
	s_waitcnt vmcnt(0) lgkmcnt(0)
	s_barrier
	ds_read_b32 v9, v4
	ds_read_b32 v10, v10
	s_waitcnt lgkmcnt(0)
	s_barrier
	s_and_saveexec_b64 s[20:21], s[2:3]
	s_cbranch_execz .LBB0_546
; %bb.545:                              ;   in Loop: Header=BB0_3 Depth=1
	v_mov_b32_e32 v11, s27
	ds_read_b32 v12, v4
	ds_read_b32 v13, v11
	s_waitcnt lgkmcnt(0)
	v_add_u32_e32 v12, v13, v12
	ds_write_b32 v11, v12
.LBB0_546:                              ;   in Loop: Header=BB0_3 Depth=1
	s_or_b64 exec, exec, s[20:21]
	v_cmp_ne_u32_e32 vcc, s9, v8
	s_and_saveexec_b64 s[20:21], vcc
	s_cbranch_execz .LBB0_548
; %bb.547:                              ;   in Loop: Header=BB0_3 Depth=1
	v_sub_u32_e32 v1, v9, v1
	v_add_u32_e32 v9, v1, v10
	v_ashrrev_i32_e32 v10, 31, v9
	v_lshlrev_b64 v[9:10], 2, v[9:10]
	v_mov_b32_e32 v1, s13
	v_add_co_u32_e32 v9, vcc, s12, v9
	v_addc_co_u32_e32 v10, vcc, v1, v10, vcc
	global_store_dword v[9:10], v8, off
.LBB0_548:                              ;   in Loop: Header=BB0_3 Depth=1
	s_or_b64 exec, exec, s[20:21]
	v_cmp_ne_u32_e32 vcc, s9, v2
	v_cndmask_b32_e64 v1, 0, 1, vcc
	s_and_b64 vcc, exec, s[4:5]
	s_mov_b32 s7, 1
	ds_write_b32 v4, v1
	s_cbranch_vccnz .LBB0_554
; %bb.549:                              ;   in Loop: Header=BB0_3 Depth=1
	s_mov_b32 s20, s26
.LBB0_550:                              ;   Parent Loop BB0_3 Depth=1
                                        ; =>  This Inner Loop Header: Depth=2
	s_lshr_b32 s21, s20, 1
	v_cmp_gt_u32_e32 vcc, s21, v0
	s_waitcnt vmcnt(0) lgkmcnt(0)
	s_barrier
	s_and_saveexec_b64 s[4:5], vcc
	s_cbranch_execz .LBB0_552
; %bb.551:                              ;   in Loop: Header=BB0_550 Depth=2
	v_mul_lo_u32 v8, s7, v5
	v_lshlrev_b32_e32 v8, 2, v8
	v_add3_u32 v8, 0, v8, -4
	v_lshl_add_u32 v9, s7, 2, v8
	ds_read_b32 v8, v8
	ds_read_b32 v10, v9
	s_waitcnt lgkmcnt(0)
	v_add_u32_e32 v8, v10, v8
	ds_write_b32 v9, v8
.LBB0_552:                              ;   in Loop: Header=BB0_550 Depth=2
	s_or_b64 exec, exec, s[4:5]
	s_lshl_b32 s7, s7, 1
	s_cmp_gt_u32 s20, 3
	s_cbranch_scc0 .LBB0_554
; %bb.553:                              ;   in Loop: Header=BB0_550 Depth=2
	s_mov_b32 s20, s21
	s_branch .LBB0_550
.LBB0_554:                              ;   in Loop: Header=BB0_3 Depth=1
	s_cmp_lt_i32 s7, s26
	s_cselect_b64 s[4:5], -1, 0
	v_cndmask_b32_e64 v8, 0, 1, s[4:5]
	v_readfirstlane_b32 s4, v8
	s_lshl_b32 s21, s7, s4
	s_ashr_i32 s7, s21, 1
	s_cmp_lt_i32 s7, 1
	s_cbranch_scc1 .LBB0_559
; %bb.555:                              ;   in Loop: Header=BB0_3 Depth=1
	s_mov_b32 s20, 0
	s_branch .LBB0_557
.LBB0_556:                              ;   in Loop: Header=BB0_557 Depth=2
	s_or_b64 exec, exec, s[4:5]
	s_lshl_b32 s4, s20, 1
	s_or_b32 s20, s4, 2
	s_cmp_lt_i32 s20, s7
	s_mov_b32 s21, s22
	s_cbranch_scc0 .LBB0_559
.LBB0_557:                              ;   Parent Loop BB0_3 Depth=1
                                        ; =>  This Inner Loop Header: Depth=2
	s_ashr_i32 s22, s21, 1
	v_cmp_ge_u32_e32 vcc, s20, v0
	s_waitcnt vmcnt(0) lgkmcnt(0)
	s_barrier
	s_and_saveexec_b64 s[4:5], vcc
	s_cbranch_execz .LBB0_556
; %bb.558:                              ;   in Loop: Header=BB0_557 Depth=2
	v_mul_lo_u32 v8, s22, v6
	s_and_b32 s21, s21, -4
	v_lshlrev_b32_e32 v8, 2, v8
	v_add3_u32 v8, 0, v8, -4
	v_add_u32_e32 v9, s21, v8
	ds_read_b32 v8, v8
	ds_read_b32 v10, v9
	s_waitcnt lgkmcnt(0)
	v_add_u32_e32 v8, v10, v8
	ds_write_b32 v9, v8
	s_branch .LBB0_556
.LBB0_559:                              ;   in Loop: Header=BB0_3 Depth=1
	v_mov_b32_e32 v9, s27
	s_waitcnt vmcnt(0) lgkmcnt(0)
	s_barrier
	ds_read_b32 v8, v4
	ds_read_b32 v9, v9
	s_waitcnt lgkmcnt(0)
	s_barrier
	s_and_saveexec_b64 s[4:5], s[2:3]
	s_cbranch_execnz .LBB0_561
; %bb.560:                              ;   in Loop: Header=BB0_3 Depth=1
	s_or_b64 exec, exec, s[4:5]
	v_cmp_ne_u32_e32 vcc, s9, v2
	s_and_saveexec_b64 s[4:5], vcc
	s_cbranch_execz .LBB0_2
	s_branch .LBB0_562
.LBB0_561:                              ;   in Loop: Header=BB0_3 Depth=1
	v_mov_b32_e32 v10, s27
	ds_read_b32 v11, v4
	ds_read_b32 v12, v10
	s_waitcnt lgkmcnt(0)
	v_add_u32_e32 v11, v12, v11
	ds_write_b32 v10, v11
	s_or_b64 exec, exec, s[4:5]
	v_cmp_ne_u32_e32 vcc, s9, v2
	s_and_saveexec_b64 s[4:5], vcc
	s_cbranch_execz .LBB0_2
.LBB0_562:                              ;   in Loop: Header=BB0_3 Depth=1
	v_sub_u32_e32 v1, v8, v1
	v_add_u32_e32 v8, v1, v9
	v_ashrrev_i32_e32 v9, 31, v8
	v_lshlrev_b64 v[8:9], 2, v[8:9]
	v_mov_b32_e32 v1, s13
	v_add_co_u32_e32 v8, vcc, s12, v8
	v_addc_co_u32_e32 v9, vcc, v1, v9, vcc
	global_store_dword v[8:9], v2, off
	s_branch .LBB0_2
.LBB0_563:
	s_endpgm
	.section	.rodata,"a",@progbits
	.p2align	6, 0x0
	.amdhsa_kernel _Z16StreamCompactioniiifPiPKiS_
		.amdhsa_group_segment_fixed_size 0
		.amdhsa_private_segment_fixed_size 0
		.amdhsa_kernarg_size 296
		.amdhsa_user_sgpr_count 6
		.amdhsa_user_sgpr_private_segment_buffer 1
		.amdhsa_user_sgpr_dispatch_ptr 0
		.amdhsa_user_sgpr_queue_ptr 0
		.amdhsa_user_sgpr_kernarg_segment_ptr 1
		.amdhsa_user_sgpr_dispatch_id 0
		.amdhsa_user_sgpr_flat_scratch_init 0
		.amdhsa_user_sgpr_private_segment_size 0
		.amdhsa_uses_dynamic_stack 0
		.amdhsa_system_sgpr_private_segment_wavefront_offset 0
		.amdhsa_system_sgpr_workgroup_id_x 1
		.amdhsa_system_sgpr_workgroup_id_y 0
		.amdhsa_system_sgpr_workgroup_id_z 0
		.amdhsa_system_sgpr_workgroup_info 0
		.amdhsa_system_vgpr_workitem_id 0
		.amdhsa_next_free_vgpr 44
		.amdhsa_next_free_sgpr 36
		.amdhsa_reserve_vcc 1
		.amdhsa_reserve_flat_scratch 0
		.amdhsa_float_round_mode_32 0
		.amdhsa_float_round_mode_16_64 0
		.amdhsa_float_denorm_mode_32 3
		.amdhsa_float_denorm_mode_16_64 3
		.amdhsa_dx10_clamp 1
		.amdhsa_ieee_mode 1
		.amdhsa_fp16_overflow 0
		.amdhsa_exception_fp_ieee_invalid_op 0
		.amdhsa_exception_fp_denorm_src 0
		.amdhsa_exception_fp_ieee_div_zero 0
		.amdhsa_exception_fp_ieee_overflow 0
		.amdhsa_exception_fp_ieee_underflow 0
		.amdhsa_exception_fp_ieee_inexact 0
		.amdhsa_exception_int_div_zero 0
	.end_amdhsa_kernel
	.text
.Lfunc_end0:
	.size	_Z16StreamCompactioniiifPiPKiS_, .Lfunc_end0-_Z16StreamCompactioniiifPiPKiS_
                                        ; -- End function
	.set _Z16StreamCompactioniiifPiPKiS_.num_vgpr, 44
	.set _Z16StreamCompactioniiifPiPKiS_.num_agpr, 0
	.set _Z16StreamCompactioniiifPiPKiS_.numbered_sgpr, 36
	.set _Z16StreamCompactioniiifPiPKiS_.num_named_barrier, 0
	.set _Z16StreamCompactioniiifPiPKiS_.private_seg_size, 0
	.set _Z16StreamCompactioniiifPiPKiS_.uses_vcc, 1
	.set _Z16StreamCompactioniiifPiPKiS_.uses_flat_scratch, 0
	.set _Z16StreamCompactioniiifPiPKiS_.has_dyn_sized_stack, 0
	.set _Z16StreamCompactioniiifPiPKiS_.has_recursion, 0
	.set _Z16StreamCompactioniiifPiPKiS_.has_indirect_call, 0
	.section	.AMDGPU.csdata,"",@progbits
; Kernel info:
; codeLenInByte = 16860
; TotalNumSgprs: 40
; NumVgprs: 44
; ScratchSize: 0
; MemoryBound: 0
; FloatMode: 240
; IeeeMode: 1
; LDSByteSize: 0 bytes/workgroup (compile time only)
; SGPRBlocks: 4
; VGPRBlocks: 10
; NumSGPRsForWavesPerEU: 40
; NumVGPRsForWavesPerEU: 44
; Occupancy: 5
; WaveLimiterHint : 0
; COMPUTE_PGM_RSRC2:SCRATCH_EN: 0
; COMPUTE_PGM_RSRC2:USER_SGPR: 6
; COMPUTE_PGM_RSRC2:TRAP_HANDLER: 0
; COMPUTE_PGM_RSRC2:TGID_X_EN: 1
; COMPUTE_PGM_RSRC2:TGID_Y_EN: 0
; COMPUTE_PGM_RSRC2:TGID_Z_EN: 0
; COMPUTE_PGM_RSRC2:TIDIG_COMP_CNT: 0
	.section	.AMDGPU.gpr_maximums,"",@progbits
	.set amdgpu.max_num_vgpr, 0
	.set amdgpu.max_num_agpr, 0
	.set amdgpu.max_num_sgpr, 0
	.section	.AMDGPU.csdata,"",@progbits
	.type	__hip_cuid_632f6ee1e0801bc1,@object ; @__hip_cuid_632f6ee1e0801bc1
	.section	.bss,"aw",@nobits
	.globl	__hip_cuid_632f6ee1e0801bc1
__hip_cuid_632f6ee1e0801bc1:
	.byte	0                               ; 0x0
	.size	__hip_cuid_632f6ee1e0801bc1, 1

	.ident	"AMD clang version 22.0.0git (https://github.com/RadeonOpenCompute/llvm-project roc-7.2.4 26084 f58b06dce1f9c15707c5f808fd002e18c2accf7e)"
	.section	".note.GNU-stack","",@progbits
	.addrsig
	.addrsig_sym __hip_cuid_632f6ee1e0801bc1
	.amdgpu_metadata
---
amdhsa.kernels:
  - .args:
      - .offset:         0
        .size:           4
        .value_kind:     by_value
      - .offset:         4
        .size:           4
        .value_kind:     by_value
      - .offset:         8
        .size:           4
        .value_kind:     by_value
      - .offset:         12
        .size:           4
        .value_kind:     by_value
      - .actual_access:  write_only
        .address_space:  global
        .offset:         16
        .size:           8
        .value_kind:     global_buffer
      - .actual_access:  read_only
        .address_space:  global
        .offset:         24
        .size:           8
        .value_kind:     global_buffer
      - .address_space:  global
        .offset:         32
        .size:           8
        .value_kind:     global_buffer
      - .offset:         40
        .size:           4
        .value_kind:     hidden_block_count_x
      - .offset:         44
        .size:           4
        .value_kind:     hidden_block_count_y
      - .offset:         48
        .size:           4
        .value_kind:     hidden_block_count_z
      - .offset:         52
        .size:           2
        .value_kind:     hidden_group_size_x
      - .offset:         54
        .size:           2
        .value_kind:     hidden_group_size_y
      - .offset:         56
        .size:           2
        .value_kind:     hidden_group_size_z
      - .offset:         58
        .size:           2
        .value_kind:     hidden_remainder_x
      - .offset:         60
        .size:           2
        .value_kind:     hidden_remainder_y
      - .offset:         62
        .size:           2
        .value_kind:     hidden_remainder_z
      - .offset:         80
        .size:           8
        .value_kind:     hidden_global_offset_x
      - .offset:         88
        .size:           8
        .value_kind:     hidden_global_offset_y
      - .offset:         96
        .size:           8
        .value_kind:     hidden_global_offset_z
      - .offset:         104
        .size:           2
        .value_kind:     hidden_grid_dims
      - .offset:         160
        .size:           4
        .value_kind:     hidden_dynamic_lds_size
    .group_segment_fixed_size: 0
    .kernarg_segment_align: 8
    .kernarg_segment_size: 296
    .language:       OpenCL C
    .language_version:
      - 2
      - 0
    .max_flat_workgroup_size: 1024
    .name:           _Z16StreamCompactioniiifPiPKiS_
    .private_segment_fixed_size: 0
    .sgpr_count:     40
    .sgpr_spill_count: 0
    .symbol:         _Z16StreamCompactioniiifPiPKiS_.kd
    .uniform_work_group_size: 1
    .uses_dynamic_stack: false
    .vgpr_count:     44
    .vgpr_spill_count: 0
    .wavefront_size: 64
amdhsa.target:   amdgcn-amd-amdhsa--gfx906
amdhsa.version:
  - 1
  - 2
...

	.end_amdgpu_metadata
